;; amdgpu-corpus repo=ROCm/aiter kind=harvested arch=n/a opt=n/a

/root/src/amdgpu-assembly/repos/ROCm__aiter/hsa/gfx942/fmoe_2stages/fmoe_stage1_bf16_pertokenFp8_blockscale_g1u1_48x128_2tg_pf3.co:	file format elf64-amdgpu

Disassembly of section .text:

0000000000002a00 <_ZN5aiter59fmoe_stage1_bf16_pertokenFp8_blockscale_g1u1_48x128_2tg_pf3E>:
	s_and_b32 s1, s1, 0xffff                                   // 000000002A00: 8601FF01 0000FFFF
	s_load_dwordx2 s[8:9], s[0:1], 0x0                         // 000000002A08: C0060200 00000000
	s_load_dwordx2 s[20:21], s[0:1], 0x10                      // 000000002A10: C0060500 00000010
	s_load_dwordx2 s[24:25], s[0:1], 0x20                      // 000000002A18: C0060600 00000020
	s_load_dwordx2 s[48:49], s[0:1], 0x30                      // 000000002A20: C0060C00 00000030
	s_load_dwordx2 s[28:29], s[0:1], 0x40                      // 000000002A28: C0060700 00000040
	s_load_dwordx2 s[32:33], s[0:1], 0x50                      // 000000002A30: C0060800 00000050
	s_load_dwordx2 s[36:37], s[0:1], 0x60                      // 000000002A38: C0060900 00000060
	s_load_dwordx2 s[12:13], s[0:1], 0x70                      // 000000002A40: C0060300 00000070
	s_load_dwordx2 s[44:45], s[0:1], 0x80                      // 000000002A48: C0060B00 00000080
	s_mov_b32 s89, 0                                           // 000000002A50: BED90080
	s_load_dword s64, s[0:1], 0x90                             // 000000002A54: C0021000 00000090
	s_load_dword s65, s[0:1], 0xa0                             // 000000002A5C: C0021040 000000A0
	s_load_dword s66, s[0:1], 0xb0                             // 000000002A64: C0021080 000000B0
	s_load_dword s67, s[0:1], 0xc0                             // 000000002A6C: C00210C0 000000C0
	s_load_dword s68, s[0:1], 0xd0                             // 000000002A74: C0021100 000000D0
	s_load_dword s69, s[0:1], 0xe0                             // 000000002A7C: C0021140 000000E0
	s_load_dword s71, s[0:1], 0xf0                             // 000000002A84: C00211C0 000000F0
	s_load_dword s72, s[0:1], 0x100                            // 000000002A8C: C0021200 00000100
	s_load_dword s74, s[0:1], 0x110                            // 000000002A94: C0021280 00000110
	s_load_dword s76, s[0:1], 0x120                            // 000000002A9C: C0021300 00000120
	s_load_dword s56, s[0:1], 0x130                            // 000000002AA4: C0020E00 00000130
	s_load_dword s88, s[0:1], 0x140                            // 000000002AAC: C0021600 00000140
	s_load_dword s89, s[0:1], 0x150                            // 000000002AB4: C0021640 00000150
	v_lshrrev_b32_e32 v1, 10, v0                               // 000000002ABC: 2002008A
	v_lshrrev_b32_e32 v2, 10, v1                               // 000000002AC0: 2004028A
	v_and_b32_e32 v2, 0x3ff, v2                                // 000000002AC4: 260404FF 000003FF
	v_and_b32_e32 v1, 0x3ff, v1                                // 000000002ACC: 260202FF 000003FF
	v_and_b32_e32 v0, 0x3ff, v0                                // 000000002AD4: 260000FF 000003FF
	v_lshrrev_b32_e32 v3, 6, v0                                // 000000002ADC: 20060086
	v_and_b32_e32 v0, 63, v0                                   // 000000002AE0: 260000BF
	s_mov_b32 s2, s2                                           // 000000002AE4: BE820002
	s_mov_b32 s3, s3                                           // 000000002AE8: BE830003
	s_mov_b32 s4, s4                                           // 000000002AEC: BE840004
	v_readfirstlane_b32 s7, v3                                 // 000000002AF0: 7E0E0503
	s_waitcnt lgkmcnt(0)                                       // 000000002AF4: BF8CC07F
	s_and_b32 s49, s49, 0xffff                                 // 000000002AF8: 8631FF31 0000FFFF
	s_load_dword s48, s[48:49], 0x0                            // 000000002B00: C0020C18 00000000
	s_and_b32 s45, s45, 0xffff                                 // 000000002B08: 862DFF2D 0000FFFF
	s_and_b32 s9, s9, 0xffff                                   // 000000002B10: 8609FF09 0000FFFF
	s_mul_i32 s60, s66, s68                                    // 000000002B18: 923C4442
	s_mul_i32 s61, s66, 4                                      // 000000002B1C: 923D8442
	s_mov_b32 s22, s60                                         // 000000002B20: BE96003C
	s_mov_b32 s26, -16                                         // 000000002B24: BE9A00D0
	s_mov_b32 s30, s61                                         // 000000002B28: BE9E003D
	s_mov_b32 s14, 0xc0                                        // 000000002B2C: BE8E00FF 000000C0
	s_mov_b32 s38, -16                                         // 000000002B34: BEA600D0
	s_mov_b32 s10, -16                                         // 000000002B38: BE8A00D0
	s_lshr_b32 s60, s64, 7                                     // 000000002B3C: 8F3C8740
	s_mul_i32 s61, s60, 4                                      // 000000002B40: 923D843C
	s_lshr_b32 s60, s65, 7                                     // 000000002B44: 8F3C8741
	s_add_u32 s60, s60, 1                                      // 000000002B48: 803C813C
	s_mul_i32 s60, s60, s61                                    // 000000002B4C: 923C3D3C
	s_mov_b32 s34, s60                                         // 000000002B50: BEA2003C
	s_mov_b32 s23, 0x20000                                     // 000000002B54: BE9700FF 00020000
	s_mov_b32 s27, 0x20000                                     // 000000002B5C: BE9B00FF 00020000
	s_mov_b32 s31, 0x20000                                     // 000000002B64: BE9F00FF 00020000
	s_mov_b32 s35, 0x20000                                     // 000000002B6C: BEA300FF 00020000
	s_mov_b32 s15, 0x20000                                     // 000000002B74: BE8F00FF 00020000
	s_mov_b32 s39, 0x20000                                     // 000000002B7C: BEA700FF 00020000
	s_mov_b32 s11, 0x20000                                     // 000000002B84: BE8B00FF 00020000
	s_and_b32 s21, s21, 0xffff                                 // 000000002B8C: 8615FF15 0000FFFF
	s_and_b32 s25, s25, 0xffff                                 // 000000002B94: 8619FF19 0000FFFF
	s_and_b32 s29, s29, 0xffff                                 // 000000002B9C: 861DFF1D 0000FFFF
	s_and_b32 s33, s33, 0xffff                                 // 000000002BA4: 8621FF21 0000FFFF
	s_and_b32 s13, s13, 0xffff                                 // 000000002BAC: 860DFF0D 0000FFFF
	s_and_b32 s37, s37, 0xffff                                 // 000000002BB4: 8625FF25 0000FFFF
	s_or_b32 s21, s21, 0x40000                                 // 000000002BBC: 8715FF15 00040000
	s_or_b32 s25, s25, 0x40000                                 // 000000002BC4: 8719FF19 00040000
	s_or_b32 s29, s29, 0x40000                                 // 000000002BCC: 871DFF1D 00040000
	s_or_b32 s33, s33, 0x40000                                 // 000000002BD4: 8721FF21 00040000
	s_or_b32 s13, s13, 0x40000                                 // 000000002BDC: 870DFF0D 00040000
	s_or_b32 s37, s37, 0x40000                                 // 000000002BE4: 8725FF25 00040000
	v_accvgpr_write_b32 a95, 0                                 // 000000002BEC: D3D9405F 18000080
	v_mov_b32_e32 v99, 0                                       // 000000002BF4: 7EC60280
	s_waitcnt lgkmcnt(0)                                       // 000000002BF8: BF8CC07F
	s_mul_i32 s60, s3, 48                                      // 000000002BFC: 923CB003
	s_cmp_lt_i32 s60, s48                                      // 000000002C00: BF04303C
	s_cbranch_scc0 label_1EAE                                  // 000000002C04: BF841E29
	s_mov_b32 s80, 0                                           // 000000002C08: BED00080
	s_lshr_b32 s81, s64, s88                                   // 000000002C0C: 8F515840
	s_mul_i32 s60, s3, 4                                       // 000000002C10: 923C8403
	s_add_u32 s44, s60, s44                                    // 000000002C14: 802C2C3C
	s_addc_u32 s45, 0, s45                                     // 000000002C18: 822D2D80
	s_load_dword s5, s[44:45], 0x0                             // 000000002C1C: C0020156 00000000
	s_mul_i32 s60, s3, 48                                      // 000000002C24: 923CB003
	s_mul_i32 s60, 4, s60                                      // 000000002C28: 923C3C84
	s_add_u32 s12, s60, s12                                    // 000000002C2C: 800C0C3C
	s_addc_u32 s13, 0, s13                                     // 000000002C30: 820D0D80
	v_and_b32_e32 v4, 15, v0                                   // 000000002C34: 2608008F
	v_lshlrev_b32_e32 v4, 2, v4                                // 000000002C38: 24080882
	buffer_load_dword v30, v4, s[12:15], 0 offen               // 000000002C3C: E0501000 80031E04
	v_add_u32_e32 v4, 64, v4                                   // 000000002C44: 680808C0
	buffer_load_dword v31, v4, s[12:15], 0 offen               // 000000002C48: E0501000 80031F04
	v_add_u32_e32 v4, 64, v4                                   // 000000002C50: 680808C0
	buffer_load_dword v32, v4, s[12:15], 0 offen               // 000000002C54: E0501000 80032004
	v_add_u32_e32 v4, 64, v4                                   // 000000002C5C: 680808C0
	s_mul_i32 s60, 4, s7                                       // 000000002C60: 923C0784
	v_lshlrev_b32_e32 v4, 4, v0                                // 000000002C64: 24080084
	v_add_u32_e32 v4, s60, v4                                  // 000000002C68: 6808083C
	buffer_load_dword v3, v4, s[12:15], 0 offen                // 000000002C6C: E0501000 80030304
	v_mov_b32_e32 v52, 0                                       // 000000002C74: 7E680280
	v_mov_b32_e32 v76, 0                                       // 000000002C78: 7E980280
	v_mov_b32_e32 v53, 0                                       // 000000002C7C: 7E6A0280
	v_mov_b32_e32 v77, 0                                       // 000000002C80: 7E9A0280
	v_mov_b32_e32 v54, 0                                       // 000000002C84: 7E6C0280
	v_mov_b32_e32 v78, 0                                       // 000000002C88: 7E9C0280
	v_mov_b32_e32 v55, 0                                       // 000000002C8C: 7E6E0280
	v_mov_b32_e32 v79, 0                                       // 000000002C90: 7E9E0280
	v_mov_b32_e32 v56, 0                                       // 000000002C94: 7E700280
	v_mov_b32_e32 v80, 0                                       // 000000002C98: 7EA00280
	v_mov_b32_e32 v57, 0                                       // 000000002C9C: 7E720280
	v_mov_b32_e32 v81, 0                                       // 000000002CA0: 7EA20280
	v_mov_b32_e32 v58, 0                                       // 000000002CA4: 7E740280
	v_mov_b32_e32 v82, 0                                       // 000000002CA8: 7EA40280
	v_mov_b32_e32 v59, 0                                       // 000000002CAC: 7E760280
	v_mov_b32_e32 v83, 0                                       // 000000002CB0: 7EA60280
	v_mov_b32_e32 v60, 0                                       // 000000002CB4: 7E780280
	v_mov_b32_e32 v84, 0                                       // 000000002CB8: 7EA80280
	v_mov_b32_e32 v61, 0                                       // 000000002CBC: 7E7A0280
	v_mov_b32_e32 v85, 0                                       // 000000002CC0: 7EAA0280
	v_mov_b32_e32 v62, 0                                       // 000000002CC4: 7E7C0280
	v_mov_b32_e32 v86, 0                                       // 000000002CC8: 7EAC0280
	v_mov_b32_e32 v63, 0                                       // 000000002CCC: 7E7E0280
	v_mov_b32_e32 v87, 0                                       // 000000002CD0: 7EAE0280
	v_mov_b32_e32 v64, 0                                       // 000000002CD4: 7E800280
	v_mov_b32_e32 v88, 0                                       // 000000002CD8: 7EB00280
	v_mov_b32_e32 v65, 0                                       // 000000002CDC: 7E820280
	v_mov_b32_e32 v89, 0                                       // 000000002CE0: 7EB20280
	v_mov_b32_e32 v66, 0                                       // 000000002CE4: 7E840280
	v_mov_b32_e32 v90, 0                                       // 000000002CE8: 7EB40280
	v_mov_b32_e32 v67, 0                                       // 000000002CEC: 7E860280
	v_mov_b32_e32 v91, 0                                       // 000000002CF0: 7EB60280
	v_mov_b32_e32 v68, 0                                       // 000000002CF4: 7E880280
	v_mov_b32_e32 v92, 0                                       // 000000002CF8: 7EB80280
	v_mov_b32_e32 v69, 0                                       // 000000002CFC: 7E8A0280
	v_mov_b32_e32 v93, 0                                       // 000000002D00: 7EBA0280
	v_mov_b32_e32 v70, 0                                       // 000000002D04: 7E8C0280
	v_mov_b32_e32 v94, 0                                       // 000000002D08: 7EBC0280
	v_mov_b32_e32 v71, 0                                       // 000000002D0C: 7E8E0280
	v_mov_b32_e32 v95, 0                                       // 000000002D10: 7EBE0280
	v_mov_b32_e32 v72, 0                                       // 000000002D14: 7E900280
	v_mov_b32_e32 v96, 0                                       // 000000002D18: 7EC00280
	v_mov_b32_e32 v73, 0                                       // 000000002D1C: 7E920280
	v_mov_b32_e32 v97, 0                                       // 000000002D20: 7EC20280
	v_mov_b32_e32 v74, 0                                       // 000000002D24: 7E940280
	v_mov_b32_e32 v98, 0                                       // 000000002D28: 7EC40280
	v_mov_b32_e32 v75, 0                                       // 000000002D2C: 7E960280
	v_mov_b32_e32 v99, 0                                       // 000000002D30: 7EC60280
	s_mul_i32 s60, s2, 0x80                                    // 000000002D34: 923CFF02 00000080
	s_cmp_eq_u32 s88, 0                                        // 000000002D3C: BF068058
	s_cselect_b32 s61, 1, 4                                    // 000000002D40: 853D8481
	s_mul_i32 s60, s60, s61                                    // 000000002D44: 923C3D3C
	s_mov_b32 s90, s8                                          // 000000002D48: BEDA0008
	s_mov_b32 s91, s9                                          // 000000002D4C: BEDB0009
	s_add_u32 s8, s60, s8                                      // 000000002D50: 8008083C
	s_addc_u32 s9, 0, s9                                       // 000000002D54: 82090980
	v_lshrrev_b32_e32 v4, 4, v0                                // 000000002D58: 20080084
	v_mul_lo_u32 v20, 34, v4                                   // 000000002D5C: D2850014 000208A2
	v_and_b32_e32 v4, 15, v0                                   // 000000002D64: 2608008F
	v_mul_lo_u32 v5, 2, v4                                     // 000000002D68: D2850005 00020882
	v_add_u32_e32 v20, v5, v20                                 // 000000002D70: 68282905
	s_mul_i32 s60, s7, 0x88                                    // 000000002D74: 923CFF07 00000088
	v_add_u32_e32 v20, s60, v20                                // 000000002D7C: 6828283C
	v_lshlrev_b32_e32 v20, 2, v20                              // 000000002D80: 24282882
	v_and_b32_e32 v4, 31, v0                                   // 000000002D84: 2608009F
	v_lshrrev_b32_e32 v4, 1, v4                                // 000000002D88: 20080881
	v_mul_lo_u32 v21, 34, v4                                   // 000000002D8C: D2850015 000208A2
	v_lshrrev_b32_e32 v4, 5, v0                                // 000000002D94: 20080085
	v_mul_lo_u32 v4, 8, v4                                     // 000000002D98: D2850004 00020888
	v_add_u32_e32 v21, v21, v4                                 // 000000002DA0: 682A0915
	v_and_b32_e32 v5, 1, v0                                    // 000000002DA4: 260A0081
	v_add_u32_e32 v21, v5, v21                                 // 000000002DA8: 682A2B05
	s_mul_i32 s60, s7, 2                                       // 000000002DAC: 923C8207
	v_add_u32_e32 v21, s60, v21                                // 000000002DB0: 682A2A3C
	v_lshlrev_b32_e32 v21, 2, v21                              // 000000002DB4: 242A2A82
	s_mul_i32 s60, s7, 0x620                                   // 000000002DB8: 923CFF07 00000620
	s_add_u32 s48, 0, s60                                      // 000000002DC0: 80303C80
	s_add_u32 s49, 0x1880, s48                                 // 000000002DC4: 803130FF 00001880
	s_add_u32 s50, 0x1880, s49                                 // 000000002DCC: 803231FF 00001880
	v_lshrrev_b32_e32 v4, 4, v0                                // 000000002DD4: 20080084
	v_lshlrev_b32_e32 v5, 2, v4                                // 000000002DD8: 240A0882
	v_and_b32_e32 v4, 15, v0                                   // 000000002DDC: 2608008F
	v_lshrrev_b32_e32 v6, 2, v4                                // 000000002DE0: 200C0882
	v_lshlrev_b32_e32 v6, 5, v6                                // 000000002DE4: 240C0C85
	v_add_u32_e32 v5, v6, v5                                   // 000000002DE8: 680A0B06
	v_and_b32_e32 v4, 3, v0                                    // 000000002DEC: 26080083
	v_mul_u32_u24_e32 v6, 0x188, v4                            // 000000002DF0: 100C08FF 00000188
	v_add_u32_e32 v5, v6, v5                                   // 000000002DF8: 680A0B06
	v_lshlrev_b32_e32 v2, 2, v5                                // 000000002DFC: 24040A82
	s_waitcnt lgkmcnt(0)                                       // 000000002E00: BF8CC07F
	s_mul_i32 s60, s2, 0x80                                    // 000000002E04: 923CFF02 00000080
	s_mul_i32 s60, s60, s69                                    // 000000002E0C: 923C453C
	s_mul_i32 s61, s5, s72                                     // 000000002E10: 923D4805
	s_add_u32 s60, s61, s60                                    // 000000002E14: 803C3C3D
	s_add_u32 s24, s60, s24                                    // 000000002E18: 8018183C
	s_addc_u32 s25, 0, s25                                     // 000000002E1C: 82191980
	s_lshr_b32 s60, s64, s88                                   // 000000002E20: 8F3C5840
	s_mul_i32 s60, s4, s60                                     // 000000002E24: 923C3C04
	s_lshr_b32 s60, s60, 7                                     // 000000002E28: 8F3C873C
	s_mul_i32 s60, s60, 0x800                                  // 000000002E2C: 923CFF3C 00000800
	s_add_u32 s24, s60, s24                                    // 000000002E34: 8018183C
	s_addc_u32 s25, 0, s25                                     // 000000002E38: 82191980
	s_lshr_b32 s60, s69, s88                                   // 000000002E3C: 8F3C5845
	s_mul_i32 s60, s4, s60                                     // 000000002E40: 923C3C04
	s_add_u32 s20, s60, s20                                    // 000000002E44: 8014143C
	s_addc_u32 s21, 0, s21                                     // 000000002E48: 82151580
	s_mul_i32 s60, s7, 16                                      // 000000002E4C: 923C9007
	s_mul_i32 s60, s60, s69                                    // 000000002E50: 923C453C
	v_lshlrev_b32_e32 v48, 4, v0                               // 000000002E54: 24600084
	v_add_u32_e32 v48, s60, v48                                // 000000002E58: 6860603C
	s_mul_i32 s60, 64, s69                                     // 000000002E5C: 923C45C0
	v_add_u32_e32 v49, s60, v48                                // 000000002E60: 6862603C
	s_mov_b32 s84, s24                                         // 000000002E64: BED40018
	s_mov_b32 s85, s25                                         // 000000002E68: BED50019
	s_mov_b32 s86, s26                                         // 000000002E6C: BED6001A
	s_mov_b32 s87, s27                                         // 000000002E70: BED7001B
	s_mul_i32 s60, s69, s65                                    // 000000002E74: 923C4145
	s_add_u32 s84, s60, s84                                    // 000000002E78: 8054543C
	s_addc_u32 s85, 0, s85                                     // 000000002E7C: 82555580
	s_lshr_b32 s60, s64, 7                                     // 000000002E80: 8F3C8740
	s_mul_i32 s61, s60, 4                                      // 000000002E84: 923D843C
	v_and_b32_e32 v22, 15, v0                                  // 000000002E88: 262C008F
	v_mul_lo_u32 v22, v22, s61                                 // 000000002E8C: D2850016 00007B16
	s_lshr_b32 s60, s65, 7                                     // 000000002E94: 8F3C8741
	s_mul_i32 s60, s60, s61                                    // 000000002E98: 923C3D3C
	v_add_u32_e64 v23, v22, s60                                // 000000002E9C: D1340017 00007916
	s_mul_i32 s60, s2, 1                                       // 000000002EA4: 923C8102
	s_mul_i32 s60, s60, s61                                    // 000000002EA8: 923C3D3C
	s_mul_i32 s61, s5, s74                                     // 000000002EAC: 923D4A05
	s_add_u32 s61, s61, s60                                    // 000000002EB0: 803D3C3D
	s_add_u32 s32, s61, s32                                    // 000000002EB4: 8020203D
	s_addc_u32 s33, 0, s33                                     // 000000002EB8: 82212180
	s_lshr_b32 s60, s64, 7                                     // 000000002EBC: 8F3C8740
	s_lshr_b32 s60, s60, s88                                   // 000000002EC0: 8F3C583C
	s_mul_i32 s60, s4, s60                                     // 000000002EC4: 923C3C04
	s_mul_i32 s61, s60, 4                                      // 000000002EC8: 923D843C
	s_add_u32 s32, s61, s32                                    // 000000002ECC: 8020203D
	s_addc_u32 s33, 0, s33                                     // 000000002ED0: 82212180
	s_lshl_b32 s62, s66, 2                                     // 000000002ED4: 8E3E8242
	s_mul_i32 s62, s60, s62                                    // 000000002ED8: 923E3E3C
	s_add_u32 s28, s62, s28                                    // 000000002EDC: 801C1C3E
	s_addc_u32 s29, 0, s29                                     // 000000002EE0: 821D1D80
	s_mov_b32 s4, 4                                            // 000000002EE4: BE840084
	s_mov_b32 s57, 0x80                                        // 000000002EE8: BEB900FF 00000080
	s_mov_b32 s58, 0x800                                       // 000000002EF0: BEBA00FF 00000800
	s_mov_b32 s83, s58                                         // 000000002EF8: BED3003A
	s_mov_b32 s52, 0x7060302                                   // 000000002EFC: BEB400FF 07060302
	s_mov_b32 s53, 0x400                                       // 000000002F04: BEB500FF 00000400
	s_mov_b32 s54, 0x40100                                     // 000000002F0C: BEB600FF 00040100
	s_mov_b32 s55, 0x4020100                                   // 000000002F14: BEB700FF 04020100
	s_mov_b32 s6, 0x3fb8aa3b                                   // 000000002F1C: BE8600FF 3FB8AA3B
	s_mov_b32 s78, 0xbd92220c                                  // 000000002F24: BECE00FF BD92220C
	s_mov_b32 s79, 0xbd92220c                                  // 000000002F2C: BECF00FF BD92220C
	s_mov_b32 m0, s48                                          // 000000002F34: BEFC0030
	v_mov_b32_e32 v1, 0xbfcc4231                               // 000000002F38: 7E0202FF BFCC4231
	v_mov_b32_e32 v17, 0xffff0000                              // 000000002F40: 7E2202FF FFFF0000
	v_mov_b32_e32 v18, 0x7fff0000                              // 000000002F48: 7E2402FF 7FFF0000
	v_mov_b32_e32 v19, 0x7fff                                  // 000000002F50: 7E2602FF 00007FFF
	s_waitcnt vmcnt(0) expcnt(0) lgkmcnt(0)                    // 000000002F58: BF8C0000
	v_lshrrev_b32_e32 v4, 5, v0                                // 000000002F5C: 20080085
	v_xor_b32_e32 v5, 1, v4                                    // 000000002F60: 2A0A0881
	v_readlane_b32 s82, v3, 0                                  // 000000002F64: D2890052 00010103
	s_and_b32 s82, s82, 0xffffff                               // 000000002F6C: 8652FF52 00FFFFFF
	v_mul_lo_u32 v6, v5, s82                                   // 000000002F74: D2850006 0000A505
	v_readlane_b32 s82, v3, 1                                  // 000000002F7C: D2890052 00010303
	s_and_b32 s82, s82, 0xffffff                               // 000000002F84: 8652FF52 00FFFFFF
	v_mul_lo_u32 v7, v4, s82                                   // 000000002F8C: D2850007 0000A504
	v_add_u32_e32 v42, v6, v7                                  // 000000002F94: 68540F06
	v_mul_lo_u32 v42, v42, s68                                 // 000000002F98: D285002A 0000892A
	v_readlane_b32 s82, v3, 2                                  // 000000002FA0: D2890052 00010503
	s_and_b32 s82, s82, 0xffffff                               // 000000002FA8: 8652FF52 00FFFFFF
	v_mul_lo_u32 v6, v5, s82                                   // 000000002FB0: D2850006 0000A505
	v_readlane_b32 s82, v3, 3                                  // 000000002FB8: D2890052 00010703
	s_and_b32 s82, s82, 0xffffff                               // 000000002FC0: 8652FF52 00FFFFFF
	v_mul_lo_u32 v7, v4, s82                                   // 000000002FC8: D2850007 0000A504
	v_add_u32_e32 v43, v6, v7                                  // 000000002FD0: 68560F06
	v_mul_lo_u32 v43, v43, s68                                 // 000000002FD4: D285002B 0000892B
	v_readlane_b32 s82, v3, 4                                  // 000000002FDC: D2890052 00010903
	s_and_b32 s82, s82, 0xffffff                               // 000000002FE4: 8652FF52 00FFFFFF
	v_mul_lo_u32 v6, v5, s82                                   // 000000002FEC: D2850006 0000A505
	v_readlane_b32 s82, v3, 5                                  // 000000002FF4: D2890052 00010B03
	s_and_b32 s82, s82, 0xffffff                               // 000000002FFC: 8652FF52 00FFFFFF
	v_mul_lo_u32 v7, v4, s82                                   // 000000003004: D2850007 0000A504
	v_add_u32_e32 v44, v6, v7                                  // 00000000300C: 68580F06
	v_mul_lo_u32 v44, v44, s68                                 // 000000003010: D285002C 0000892C
	v_readlane_b32 s82, v3, 6                                  // 000000003018: D2890052 00010D03
	s_and_b32 s82, s82, 0xffffff                               // 000000003020: 8652FF52 00FFFFFF
	v_mul_lo_u32 v6, v5, s82                                   // 000000003028: D2850006 0000A505
	v_readlane_b32 s82, v3, 7                                  // 000000003030: D2890052 00010F03
	s_and_b32 s82, s82, 0xffffff                               // 000000003038: 8652FF52 00FFFFFF
	v_mul_lo_u32 v7, v4, s82                                   // 000000003040: D2850007 0000A504
	v_add_u32_e32 v45, v6, v7                                  // 000000003048: 685A0F06
	v_mul_lo_u32 v45, v45, s68                                 // 00000000304C: D285002D 0000892D
	v_readlane_b32 s82, v3, 8                                  // 000000003054: D2890052 00011103
	s_and_b32 s82, s82, 0xffffff                               // 00000000305C: 8652FF52 00FFFFFF
	v_mul_lo_u32 v6, v5, s82                                   // 000000003064: D2850006 0000A505
	v_readlane_b32 s82, v3, 9                                  // 00000000306C: D2890052 00011303
	s_and_b32 s82, s82, 0xffffff                               // 000000003074: 8652FF52 00FFFFFF
	v_mul_lo_u32 v7, v4, s82                                   // 00000000307C: D2850007 0000A504
	v_add_u32_e32 v46, v6, v7                                  // 000000003084: 685C0F06
	v_mul_lo_u32 v46, v46, s68                                 // 000000003088: D285002E 0000892E
	v_readlane_b32 s82, v3, 10                                 // 000000003090: D2890052 00011503
	s_and_b32 s82, s82, 0xffffff                               // 000000003098: 8652FF52 00FFFFFF
	v_mul_lo_u32 v6, v5, s82                                   // 0000000030A0: D2850006 0000A505
	v_readlane_b32 s82, v3, 11                                 // 0000000030A8: D2890052 00011703
	s_and_b32 s82, s82, 0xffffff                               // 0000000030B0: 8652FF52 00FFFFFF
	v_mul_lo_u32 v7, v4, s82                                   // 0000000030B8: D2850007 0000A504
	v_add_u32_e32 v47, v6, v7                                  // 0000000030C0: 685E0F06
	v_mul_lo_u32 v47, v47, s68                                 // 0000000030C4: D285002F 0000892F
	v_and_b32_e32 v4, 31, v0                                   // 0000000030CC: 2608009F
	v_lshlrev_b32_e32 v4, 2, v4                                // 0000000030D0: 24080882
	v_add_u32_e32 v42, v42, v4                                 // 0000000030D4: 6854092A
	v_add_u32_e32 v43, v43, v4                                 // 0000000030D8: 6856092B
	v_add_u32_e32 v44, v44, v4                                 // 0000000030DC: 6858092C
	v_add_u32_e32 v45, v45, v4                                 // 0000000030E0: 685A092D
	v_add_u32_e32 v46, v46, v4                                 // 0000000030E4: 685C092E
	v_add_u32_e32 v47, v47, v4                                 // 0000000030E8: 685E092F
	v_and_b32_e32 v30, 0xffffff, v30                           // 0000000030EC: 263C3CFF 00FFFFFF
	v_lshlrev_b32_e32 v30, 2, v30                              // 0000000030F4: 243C3C82
	v_and_b32_e32 v31, 0xffffff, v31                           // 0000000030F8: 263E3EFF 00FFFFFF
	v_lshlrev_b32_e32 v31, 2, v31                              // 000000003100: 243E3E82
	v_and_b32_e32 v32, 0xffffff, v32                           // 000000003104: 264040FF 00FFFFFF
	v_lshlrev_b32_e32 v32, 2, v32                              // 00000000310C: 24404082
	s_lshl_b32 s3, s66, 2                                      // 000000003110: 8E038242
	buffer_load_dword v42, s[20:23], 0 offen lds               // 000000003114: E0511000 8005002A
	s_add_u32 m0, 0x100, s48                                   // 00000000311C: 807C30FF 00000100
	buffer_load_dword v43, s[20:23], 0 offen lds               // 000000003124: E0511000 8005002B
	s_add_u32 m0, 0x200, s48                                   // 00000000312C: 807C30FF 00000200
	buffer_load_dword v44, s[20:23], 0 offen lds               // 000000003134: E0511000 8005002C
	s_add_u32 m0, 0x300, s48                                   // 00000000313C: 807C30FF 00000300
	buffer_load_dword v45, s[20:23], 0 offen lds               // 000000003144: E0511000 8005002D
	s_add_u32 m0, 0x400, s48                                   // 00000000314C: 807C30FF 00000400
	buffer_load_dword v46, s[20:23], 0 offen lds               // 000000003154: E0511000 8005002E
	s_add_u32 m0, 0x500, s48                                   // 00000000315C: 807C30FF 00000500
	buffer_load_dword v47, s[20:23], 0 offen lds               // 000000003164: E0511000 8005002F
	s_add_u32 m0, 0, s49                                       // 00000000316C: 807C3180
	s_add_u32 s20, s57, s20                                    // 000000003170: 80141439
	s_addc_u32 s21, 0, s21                                     // 000000003174: 82151580
	buffer_load_dword v33, v30, s[28:31], 0 offen              // 000000003178: E0501000 8007211E
	buffer_load_dword v34, v31, s[28:31], 0 offen              // 000000003180: E0501000 8007221F
	buffer_load_dword v35, v32, s[28:31], 0 offen              // 000000003188: E0501000 80072320
	s_add_u32 s28, s3, s28                                     // 000000003190: 801C1C03
	s_addc_u32 s29, 0, s29                                     // 000000003194: 821D1D80
	buffer_load_dwordx4 a[48:51], v48, s[24:27], 0 offen       // 000000003198: E05C1000 80863030
	buffer_load_dwordx4 a[52:55], v48, s[24:27], 0 offen offset:1024// 0000000031A0: E05C1400 80863430
	buffer_load_dwordx4 a[56:59], v49, s[24:27], 0 offen       // 0000000031A8: E05C1000 80863831
	buffer_load_dwordx4 a[60:63], v49, s[24:27], 0 offen offset:1024// 0000000031B0: E05C1400 80863C31
	s_add_u32 s24, s58, s24                                    // 0000000031B8: 8018183A
	s_addc_u32 s25, 0, s25                                     // 0000000031BC: 82191980
	buffer_load_dword v24, v22, s[32:35], 0 offen              // 0000000031C0: E0501000 80081816
	buffer_load_dword v42, s[20:23], 0 offen lds               // 0000000031C8: E0511000 8005002A
	s_add_u32 m0, 0x100, s49                                   // 0000000031D0: 807C31FF 00000100
	buffer_load_dword v43, s[20:23], 0 offen lds               // 0000000031D8: E0511000 8005002B
	s_add_u32 m0, 0x200, s49                                   // 0000000031E0: 807C31FF 00000200
	buffer_load_dword v44, s[20:23], 0 offen lds               // 0000000031E8: E0511000 8005002C
	s_add_u32 m0, 0x300, s49                                   // 0000000031F0: 807C31FF 00000300
	buffer_load_dword v45, s[20:23], 0 offen lds               // 0000000031F8: E0511000 8005002D
	s_add_u32 m0, 0x400, s49                                   // 000000003200: 807C31FF 00000400
	buffer_load_dword v46, s[20:23], 0 offen lds               // 000000003208: E0511000 8005002E
	s_add_u32 m0, 0x500, s49                                   // 000000003210: 807C31FF 00000500
	buffer_load_dword v47, s[20:23], 0 offen lds               // 000000003218: E0511000 8005002F
	s_add_u32 m0, 0, s50                                       // 000000003220: 807C3280
	s_add_u32 s20, s57, s20                                    // 000000003224: 80141439
	s_addc_u32 s21, 0, s21                                     // 000000003228: 82151580
	buffer_load_dword v36, v30, s[28:31], 0 offen              // 00000000322C: E0501000 8007241E
	buffer_load_dword v37, v31, s[28:31], 0 offen              // 000000003234: E0501000 8007251F
	buffer_load_dword v38, v32, s[28:31], 0 offen              // 00000000323C: E0501000 80072620
	s_add_u32 s28, s3, s28                                     // 000000003244: 801C1C03
	s_addc_u32 s29, 0, s29                                     // 000000003248: 821D1D80
	buffer_load_dwordx4 a[64:67], v48, s[84:87], 0 offen       // 00000000324C: E05C1000 80954030
	buffer_load_dwordx4 a[68:71], v48, s[84:87], 0 offen offset:1024// 000000003254: E05C1400 80954430
	buffer_load_dwordx4 a[72:75], v49, s[84:87], 0 offen       // 00000000325C: E05C1000 80954831
	buffer_load_dwordx4 a[76:79], v49, s[84:87], 0 offen offset:1024// 000000003264: E05C1400 80954C31
	s_add_u32 s84, s83, s84                                    // 00000000326C: 80545453
	s_addc_u32 s85, 0, s85                                     // 000000003270: 82555580
	buffer_load_dword v27, v23, s[32:35], 0 offen              // 000000003274: E0501000 80081B17
	s_add_u32 s32, s4, s32                                     // 00000000327C: 80202004
	s_addc_u32 s33, 0, s33                                     // 000000003280: 82212180
	s_waitcnt vmcnt(22)                                        // 000000003284: BF8C4F76
	s_barrier                                                  // 000000003288: BF8A0000
	ds_read_b128 a[0:3], v2                                    // 00000000328C: DBFE0000 00000002
	ds_read_b128 a[4:7], v2 offset:64                          // 000000003294: DBFE0040 04000002
	ds_read_b128 a[8:11], v2 offset:512                        // 00000000329C: DBFE0200 08000002
	ds_read_b128 a[12:15], v2 offset:576                       // 0000000032A4: DBFE0240 0C000002
	ds_read_b128 a[16:19], v2 offset:1024                      // 0000000032AC: DBFE0400 10000002
	ds_read_b128 a[20:23], v2 offset:1088                      // 0000000032B4: DBFE0440 14000002
	s_cmp_lt_i32 s7, 2                                         // 0000000032BC: BF048207
	s_cbranch_scc0 label_1071                                  // 0000000032C0: BF840E3D

00000000000032c4 <label_0231>:
	s_waitcnt vmcnt(14) lgkmcnt(0)                             // 0000000032C4: BF8C007E
	v_mul_f32_dpp v4, v24, v33 row_newbcast:0 row_mask:0xf bank_mask:0xf// 0000000032C8: 0A0842FA FF015018
	v_mfma_f32_16x16x32_fp8_fp8 v[8:11], a[48:49], a[0:1], 0   // 0000000032D0: D3F30008 1A020130
	buffer_load_dword v25, v22, s[32:35], 0 offen              // 0000000032D8: E0501000 80081916
	v_mfma_f32_16x16x32_fp8_fp8 v[8:11], a[50:51], a[2:3], v[8:11]// 0000000032E0: D3F30008 1C220532
	buffer_load_dwordx4 a[80:83], v48, s[24:27], 0 offen       // 0000000032E8: E05C1000 80865030
	v_mfma_f32_16x16x32_fp8_fp8 v[8:11], a[52:53], a[4:5], v[8:11]// 0000000032F0: D3F30008 1C220934
	v_mfma_f32_16x16x32_fp8_fp8 v[8:11], a[54:55], a[6:7], v[8:11]// 0000000032F8: D3F30008 1C220D36
	v_mfma_f32_16x16x32_fp8_fp8 v[12:15], a[56:57], a[0:1], 0  // 000000003300: D3F3000C 1A020138
	v_mfma_f32_16x16x32_fp8_fp8 v[12:15], a[58:59], a[2:3], v[12:15]// 000000003308: D3F3000C 1C32053A
	buffer_load_dwordx4 a[84:87], v48, s[24:27], 0 offen offset:1024// 000000003310: E05C1400 80865430
	v_mfma_f32_16x16x32_fp8_fp8 v[12:15], a[60:61], a[4:5], v[12:15]// 000000003318: D3F3000C 1C32093C
	v_mfma_f32_16x16x32_fp8_fp8 v[12:15], a[62:63], a[6:7], v[12:15]// 000000003320: D3F3000C 1C320D3E
	v_fma_f32 v52, v8, v4, v52                                 // 000000003328: D1CB0034 04D20908
	v_fma_f32 v53, v9, v4, v53                                 // 000000003330: D1CB0035 04D60909
	v_fma_f32 v54, v10, v4, v54                                // 000000003338: D1CB0036 04DA090A
	v_fma_f32 v55, v11, v4, v55                                // 000000003340: D1CB0037 04DE090B
	v_mul_f32_dpp v6, v24, v34 row_newbcast:0 row_mask:0xf bank_mask:0xf// 000000003348: 0A0C44FA FF015018
	v_mfma_f32_16x16x32_fp8_fp8 v[8:11], a[48:49], a[8:9], 0   // 000000003350: D3F30008 1A021130
	v_mfma_f32_16x16x32_fp8_fp8 v[8:11], a[50:51], a[10:11], v[8:11]// 000000003358: D3F30008 1C221532
	buffer_load_dwordx4 a[88:91], v49, s[24:27], 0 offen       // 000000003360: E05C1000 80865831
	v_mfma_f32_16x16x32_fp8_fp8 v[8:11], a[52:53], a[12:13], v[8:11]// 000000003368: D3F30008 1C221934
	v_mfma_f32_16x16x32_fp8_fp8 v[8:11], a[54:55], a[14:15], v[8:11]// 000000003370: D3F30008 1C221D36
	v_fma_f32 v64, v12, v4, v64                                // 000000003378: D1CB0040 0502090C
	v_fma_f32 v65, v13, v4, v65                                // 000000003380: D1CB0041 0506090D
	v_fma_f32 v66, v14, v4, v66                                // 000000003388: D1CB0042 050A090E
	v_fma_f32 v67, v15, v4, v67                                // 000000003390: D1CB0043 050E090F
	v_mfma_f32_16x16x32_fp8_fp8 v[12:15], a[56:57], a[8:9], 0  // 000000003398: D3F3000C 1A021138
	v_mfma_f32_16x16x32_fp8_fp8 v[12:15], a[58:59], a[10:11], v[12:15]// 0000000033A0: D3F3000C 1C32153A
	buffer_load_dwordx4 a[92:95], v49, s[24:27], 0 offen offset:1024// 0000000033A8: E05C1400 80865C31
	buffer_load_dword v42, s[20:23], 0 offen lds               // 0000000033B0: E0511000 8005002A
	s_add_u32 m0, 0x100, s50                                   // 0000000033B8: 807C32FF 00000100
	v_mfma_f32_16x16x32_fp8_fp8 v[12:15], a[60:61], a[12:13], v[12:15]// 0000000033C0: D3F3000C 1C32193C
	v_mfma_f32_16x16x32_fp8_fp8 v[12:15], a[62:63], a[14:15], v[12:15]// 0000000033C8: D3F3000C 1C321D3E
	buffer_load_dword v43, s[20:23], 0 offen lds               // 0000000033D0: E0511000 8005002B
	s_add_u32 m0, 0x200, s50                                   // 0000000033D8: 807C32FF 00000200
	v_fma_f32 v56, v8, v6, v56                                 // 0000000033E0: D1CB0038 04E20D08
	v_fma_f32 v57, v9, v6, v57                                 // 0000000033E8: D1CB0039 04E60D09
	v_fma_f32 v58, v10, v6, v58                                // 0000000033F0: D1CB003A 04EA0D0A
	v_fma_f32 v59, v11, v6, v59                                // 0000000033F8: D1CB003B 04EE0D0B
	v_mul_f32_dpp v4, v24, v35 row_newbcast:0 row_mask:0xf bank_mask:0xf// 000000003400: 0A0846FA FF015018
	v_mfma_f32_16x16x32_fp8_fp8 v[8:11], a[48:49], a[16:17], 0 // 000000003408: D3F30008 1A022130
	v_mfma_f32_16x16x32_fp8_fp8 v[8:11], a[50:51], a[18:19], v[8:11]// 000000003410: D3F30008 1C222532
	buffer_load_dword v44, s[20:23], 0 offen lds               // 000000003418: E0511000 8005002C
	s_add_u32 m0, 0x300, s50                                   // 000000003420: 807C32FF 00000300
	v_mfma_f32_16x16x32_fp8_fp8 v[8:11], a[52:53], a[20:21], v[8:11]// 000000003428: D3F30008 1C222934
	v_mfma_f32_16x16x32_fp8_fp8 v[8:11], a[54:55], a[22:23], v[8:11]// 000000003430: D3F30008 1C222D36
	buffer_load_dword v45, s[20:23], 0 offen lds               // 000000003438: E0511000 8005002D
	s_add_u32 m0, 0x400, s50                                   // 000000003440: 807C32FF 00000400
	v_fma_f32 v68, v12, v6, v68                                // 000000003448: D1CB0044 05120D0C
	v_fma_f32 v69, v13, v6, v69                                // 000000003450: D1CB0045 05160D0D
	v_fma_f32 v70, v14, v6, v70                                // 000000003458: D1CB0046 051A0D0E
	v_fma_f32 v71, v15, v6, v71                                // 000000003460: D1CB0047 051E0D0F
	v_mfma_f32_16x16x32_fp8_fp8 v[12:15], a[56:57], a[16:17], 0// 000000003468: D3F3000C 1A022138
	v_mfma_f32_16x16x32_fp8_fp8 v[12:15], a[58:59], a[18:19], v[12:15]// 000000003470: D3F3000C 1C32253A
	buffer_load_dword v46, s[20:23], 0 offen lds               // 000000003478: E0511000 8005002E
	s_add_u32 m0, 0x500, s50                                   // 000000003480: 807C32FF 00000500
	v_mfma_f32_16x16x32_fp8_fp8 v[12:15], a[60:61], a[20:21], v[12:15]// 000000003488: D3F3000C 1C32293C
	v_mfma_f32_16x16x32_fp8_fp8 v[12:15], a[62:63], a[22:23], v[12:15]// 000000003490: D3F3000C 1C322D3E
	buffer_load_dword v47, s[20:23], 0 offen lds               // 000000003498: E0511000 8005002F
	s_add_u32 m0, 0, s48                                       // 0000000034A0: 807C3080
	v_fma_f32 v60, v8, v4, v60                                 // 0000000034A4: D1CB003C 04F20908
	v_fma_f32 v61, v9, v4, v61                                 // 0000000034AC: D1CB003D 04F60909
	v_fma_f32 v62, v10, v4, v62                                // 0000000034B4: D1CB003E 04FA090A
	v_fma_f32 v63, v11, v4, v63                                // 0000000034BC: D1CB003F 04FE090B
	v_fma_f32 v72, v12, v4, v72                                // 0000000034C4: D1CB0048 0522090C
	v_fma_f32 v73, v13, v4, v73                                // 0000000034CC: D1CB0049 0526090D
	v_fma_f32 v74, v14, v4, v74                                // 0000000034D4: D1CB004A 052A090E
	v_fma_f32 v75, v15, v4, v75                                // 0000000034DC: D1CB004B 052E090F
	buffer_load_dword v39, v30, s[28:31], 0 offen              // 0000000034E4: E0501000 8007271E
	buffer_load_dword v40, v31, s[28:31], 0 offen              // 0000000034EC: E0501000 8007281F
	buffer_load_dword v41, v32, s[28:31], 0 offen              // 0000000034F4: E0501000 80072920
	s_waitcnt vmcnt(14)                                        // 0000000034FC: BF8C0F7E
	s_barrier                                                  // 000000003500: BF8A0000
	v_mul_f32_dpp v4, v27, v33 row_newbcast:0 row_mask:0xf bank_mask:0xf// 000000003504: 0A0842FA FF01501B
	v_mfma_f32_16x16x32_fp8_fp8 v[8:11], a[64:65], a[0:1], 0   // 00000000350C: D3F30008 1A020140
	buffer_load_dword v28, v23, s[32:35], 0 offen              // 000000003514: E0501000 80081C17
	v_mfma_f32_16x16x32_fp8_fp8 v[8:11], a[66:67], a[2:3], v[8:11]// 00000000351C: D3F30008 1C220542
	buffer_load_dwordx4 a[48:51], v48, s[84:87], 0 offen       // 000000003524: E05C1000 80953030
	v_mfma_f32_16x16x32_fp8_fp8 v[8:11], a[68:69], a[4:5], v[8:11]// 00000000352C: D3F30008 1C220944
	v_mfma_f32_16x16x32_fp8_fp8 v[8:11], a[70:71], a[6:7], v[8:11]// 000000003534: D3F30008 1C220D46
	ds_read_b128 a[24:27], v2 offset:6272                      // 00000000353C: DBFE1880 18000002
	ds_read_b128 a[28:31], v2 offset:6336                      // 000000003544: DBFE18C0 1C000002
	v_mfma_f32_16x16x32_fp8_fp8 v[12:15], a[72:73], a[0:1], 0  // 00000000354C: D3F3000C 1A020148
	v_mfma_f32_16x16x32_fp8_fp8 v[12:15], a[74:75], a[2:3], v[12:15]// 000000003554: D3F3000C 1C32054A
	buffer_load_dwordx4 a[52:55], v48, s[84:87], 0 offen offset:1024// 00000000355C: E05C1400 80953430
	v_mfma_f32_16x16x32_fp8_fp8 v[12:15], a[76:77], a[4:5], v[12:15]// 000000003564: D3F3000C 1C32094C
	v_mfma_f32_16x16x32_fp8_fp8 v[12:15], a[78:79], a[6:7], v[12:15]// 00000000356C: D3F3000C 1C320D4E
	ds_read_b128 a[32:35], v2 offset:6784                      // 000000003574: DBFE1A80 20000002
	ds_read_b128 a[36:39], v2 offset:6848                      // 00000000357C: DBFE1AC0 24000002
	v_fma_f32 v76, v8, v4, v76                                 // 000000003584: D1CB004C 05320908
	v_fma_f32 v77, v9, v4, v77                                 // 00000000358C: D1CB004D 05360909
	v_fma_f32 v78, v10, v4, v78                                // 000000003594: D1CB004E 053A090A
	v_fma_f32 v79, v11, v4, v79                                // 00000000359C: D1CB004F 053E090B
	v_mul_f32_dpp v6, v27, v34 row_newbcast:0 row_mask:0xf bank_mask:0xf// 0000000035A4: 0A0C44FA FF01501B
	v_mfma_f32_16x16x32_fp8_fp8 v[8:11], a[64:65], a[8:9], 0   // 0000000035AC: D3F30008 1A021140
	v_mfma_f32_16x16x32_fp8_fp8 v[8:11], a[66:67], a[10:11], v[8:11]// 0000000035B4: D3F30008 1C221542
	buffer_load_dwordx4 a[56:59], v49, s[84:87], 0 offen       // 0000000035BC: E05C1000 80953831
	v_mfma_f32_16x16x32_fp8_fp8 v[8:11], a[68:69], a[12:13], v[8:11]// 0000000035C4: D3F30008 1C221944
	v_mfma_f32_16x16x32_fp8_fp8 v[8:11], a[70:71], a[14:15], v[8:11]// 0000000035CC: D3F30008 1C221D46
	ds_read_b128 a[40:43], v2 offset:7296                      // 0000000035D4: DBFE1C80 28000002
	ds_read_b128 a[44:47], v2 offset:7360                      // 0000000035DC: DBFE1CC0 2C000002
	v_fma_f32 v88, v12, v4, v88                                // 0000000035E4: D1CB0058 0562090C
	v_fma_f32 v89, v13, v4, v89                                // 0000000035EC: D1CB0059 0566090D
	v_fma_f32 v90, v14, v4, v90                                // 0000000035F4: D1CB005A 056A090E
	v_fma_f32 v91, v15, v4, v91                                // 0000000035FC: D1CB005B 056E090F
	v_mfma_f32_16x16x32_fp8_fp8 v[12:15], a[72:73], a[8:9], 0  // 000000003604: D3F3000C 1A021148
	v_mfma_f32_16x16x32_fp8_fp8 v[12:15], a[74:75], a[10:11], v[12:15]// 00000000360C: D3F3000C 1C32154A
	buffer_load_dwordx4 a[60:63], v49, s[84:87], 0 offen offset:1024// 000000003614: E05C1400 80953C31
	v_mfma_f32_16x16x32_fp8_fp8 v[12:15], a[76:77], a[12:13], v[12:15]// 00000000361C: D3F3000C 1C32194C
	v_mfma_f32_16x16x32_fp8_fp8 v[12:15], a[78:79], a[14:15], v[12:15]// 000000003624: D3F3000C 1C321D4E
	v_fma_f32 v80, v8, v6, v80                                 // 00000000362C: D1CB0050 05420D08
	v_fma_f32 v81, v9, v6, v81                                 // 000000003634: D1CB0051 05460D09
	v_fma_f32 v82, v10, v6, v82                                // 00000000363C: D1CB0052 054A0D0A
	v_fma_f32 v83, v11, v6, v83                                // 000000003644: D1CB0053 054E0D0B
	v_mul_f32_dpp v4, v27, v35 row_newbcast:0 row_mask:0xf bank_mask:0xf// 00000000364C: 0A0846FA FF01501B
	v_mfma_f32_16x16x32_fp8_fp8 v[8:11], a[64:65], a[16:17], 0 // 000000003654: D3F30008 1A022140
	s_add_u32 s60, 0x180, s80                                  // 00000000365C: 803C50FF 00000180
	s_cmp_lt_u32 s60, s81                                      // 000000003664: BF0A513C
	s_cselect_b32 s57, s57, 0                                  // 000000003668: 85398039
	s_cselect_b32 s3, s3, 0                                    // 00000000366C: 85038003
	v_mfma_f32_16x16x32_fp8_fp8 v[8:11], a[66:67], a[18:19], v[8:11]// 000000003670: D3F30008 1C222542
	s_add_u32 s60, 0x100, s80                                  // 000000003678: 803C50FF 00000100
	s_cmp_lt_u32 s60, s81                                      // 000000003680: BF0A513C
	s_cselect_b32 s58, s58, 0                                  // 000000003684: 853A803A
	v_mfma_f32_16x16x32_fp8_fp8 v[8:11], a[68:69], a[20:21], v[8:11]// 000000003688: D3F30008 1C222944
	s_add_u32 s60, 0x100, s80                                  // 000000003690: 803C50FF 00000100
	s_cmp_lt_u32 s60, s81                                      // 000000003698: BF0A513C
	s_cselect_b32 s83, s83, 0                                  // 00000000369C: 85538053
	s_cselect_b32 s4, s4, 0                                    // 0000000036A0: 85048004
	v_mfma_f32_16x16x32_fp8_fp8 v[8:11], a[70:71], a[22:23], v[8:11]// 0000000036A4: D3F30008 1C222D46
	s_add_u32 s24, s58, s24                                    // 0000000036AC: 8018183A
	s_addc_u32 s25, 0, s25                                     // 0000000036B0: 82191980
	v_fma_f32 v92, v12, v6, v92                                // 0000000036B4: D1CB005C 05720D0C
	v_fma_f32 v93, v13, v6, v93                                // 0000000036BC: D1CB005D 05760D0D
	v_fma_f32 v94, v14, v6, v94                                // 0000000036C4: D1CB005E 057A0D0E
	v_fma_f32 v95, v15, v6, v95                                // 0000000036CC: D1CB005F 057E0D0F
	v_mfma_f32_16x16x32_fp8_fp8 v[12:15], a[72:73], a[16:17], 0// 0000000036D4: D3F3000C 1A022148
	s_add_u32 s20, s57, s20                                    // 0000000036DC: 80141439
	s_addc_u32 s21, 0, s21                                     // 0000000036E0: 82151580
	s_add_u32 s28, s3, s28                                     // 0000000036E4: 801C1C03
	s_addc_u32 s29, 0, s29                                     // 0000000036E8: 821D1D80
	v_mfma_f32_16x16x32_fp8_fp8 v[12:15], a[74:75], a[18:19], v[12:15]// 0000000036EC: D3F3000C 1C32254A
	s_add_u32 s84, s83, s84                                    // 0000000036F4: 80545453
	s_addc_u32 s85, 0, s85                                     // 0000000036F8: 82555580
	v_mfma_f32_16x16x32_fp8_fp8 v[12:15], a[76:77], a[20:21], v[12:15]// 0000000036FC: D3F3000C 1C32294C
	s_add_u32 s32, s4, s32                                     // 000000003704: 80202004
	s_addc_u32 s33, 0, s33                                     // 000000003708: 82212180
	v_mfma_f32_16x16x32_fp8_fp8 v[12:15], a[78:79], a[22:23], v[12:15]// 00000000370C: D3F3000C 1C322D4E
	v_fma_f32 v84, v8, v4, v84                                 // 000000003714: D1CB0054 05520908
	v_fma_f32 v85, v9, v4, v85                                 // 00000000371C: D1CB0055 05560909
	v_fma_f32 v86, v10, v4, v86                                // 000000003724: D1CB0056 055A090A
	v_fma_f32 v87, v11, v4, v87                                // 00000000372C: D1CB0057 055E090B
	v_fma_f32 v96, v12, v4, v96                                // 000000003734: D1CB0060 0582090C
	v_fma_f32 v97, v13, v4, v97                                // 00000000373C: D1CB0061 0586090D
	v_fma_f32 v98, v14, v4, v98                                // 000000003744: D1CB0062 058A090E
	v_fma_f32 v99, v15, v4, v99                                // 00000000374C: D1CB0063 058E090F
	s_addk_i32 s80, 0x80                                       // 000000003754: B7500080
	s_cmp_lt_i32 s80, s81                                      // 000000003758: BF045150
	s_cbranch_scc0 label_091C                                  // 00000000375C: BF8405C4
	s_waitcnt vmcnt(14) lgkmcnt(0)                             // 000000003760: BF8C007E
	v_mul_f32_dpp v4, v25, v36 row_newbcast:0 row_mask:0xf bank_mask:0xf// 000000003764: 0A0848FA FF015019
	v_mfma_f32_16x16x32_fp8_fp8 v[8:11], a[80:81], a[24:25], 0 // 00000000376C: D3F30008 1A023150
	buffer_load_dword v26, v22, s[32:35], 0 offen              // 000000003774: E0501000 80081A16
	v_mfma_f32_16x16x32_fp8_fp8 v[8:11], a[82:83], a[26:27], v[8:11]// 00000000377C: D3F30008 1C223552
	buffer_load_dwordx4 a[64:67], v48, s[24:27], 0 offen       // 000000003784: E05C1000 80864030
	v_mfma_f32_16x16x32_fp8_fp8 v[8:11], a[84:85], a[28:29], v[8:11]// 00000000378C: D3F30008 1C223954
	v_mfma_f32_16x16x32_fp8_fp8 v[8:11], a[86:87], a[30:31], v[8:11]// 000000003794: D3F30008 1C223D56
	v_mfma_f32_16x16x32_fp8_fp8 v[12:15], a[88:89], a[24:25], 0// 00000000379C: D3F3000C 1A023158
	v_mfma_f32_16x16x32_fp8_fp8 v[12:15], a[90:91], a[26:27], v[12:15]// 0000000037A4: D3F3000C 1C32355A
	buffer_load_dwordx4 a[68:71], v48, s[24:27], 0 offen offset:1024// 0000000037AC: E05C1400 80864430
	v_mfma_f32_16x16x32_fp8_fp8 v[12:15], a[92:93], a[28:29], v[12:15]// 0000000037B4: D3F3000C 1C32395C
	v_mfma_f32_16x16x32_fp8_fp8 v[12:15], a[94:95], a[30:31], v[12:15]// 0000000037BC: D3F3000C 1C323D5E
	v_fma_f32 v52, v8, v4, v52                                 // 0000000037C4: D1CB0034 04D20908
	v_fma_f32 v53, v9, v4, v53                                 // 0000000037CC: D1CB0035 04D60909
	v_fma_f32 v54, v10, v4, v54                                // 0000000037D4: D1CB0036 04DA090A
	v_fma_f32 v55, v11, v4, v55                                // 0000000037DC: D1CB0037 04DE090B
	v_mul_f32_dpp v6, v25, v37 row_newbcast:0 row_mask:0xf bank_mask:0xf// 0000000037E4: 0A0C4AFA FF015019
	v_mfma_f32_16x16x32_fp8_fp8 v[8:11], a[80:81], a[32:33], 0 // 0000000037EC: D3F30008 1A024150
	v_mfma_f32_16x16x32_fp8_fp8 v[8:11], a[82:83], a[34:35], v[8:11]// 0000000037F4: D3F30008 1C224552
	buffer_load_dwordx4 a[72:75], v49, s[24:27], 0 offen       // 0000000037FC: E05C1000 80864831
	v_mfma_f32_16x16x32_fp8_fp8 v[8:11], a[84:85], a[36:37], v[8:11]// 000000003804: D3F30008 1C224954
	v_mfma_f32_16x16x32_fp8_fp8 v[8:11], a[86:87], a[38:39], v[8:11]// 00000000380C: D3F30008 1C224D56
	v_fma_f32 v64, v12, v4, v64                                // 000000003814: D1CB0040 0502090C
	v_fma_f32 v65, v13, v4, v65                                // 00000000381C: D1CB0041 0506090D
	v_fma_f32 v66, v14, v4, v66                                // 000000003824: D1CB0042 050A090E
	v_fma_f32 v67, v15, v4, v67                                // 00000000382C: D1CB0043 050E090F
	v_mfma_f32_16x16x32_fp8_fp8 v[12:15], a[88:89], a[32:33], 0// 000000003834: D3F3000C 1A024158
	v_mfma_f32_16x16x32_fp8_fp8 v[12:15], a[90:91], a[34:35], v[12:15]// 00000000383C: D3F3000C 1C32455A
	buffer_load_dwordx4 a[76:79], v49, s[24:27], 0 offen offset:1024// 000000003844: E05C1400 80864C31
	buffer_load_dword v42, s[20:23], 0 offen lds               // 00000000384C: E0511000 8005002A
	s_add_u32 m0, 0x100, s48                                   // 000000003854: 807C30FF 00000100
	v_mfma_f32_16x16x32_fp8_fp8 v[12:15], a[92:93], a[36:37], v[12:15]// 00000000385C: D3F3000C 1C32495C
	v_mfma_f32_16x16x32_fp8_fp8 v[12:15], a[94:95], a[38:39], v[12:15]// 000000003864: D3F3000C 1C324D5E
	buffer_load_dword v43, s[20:23], 0 offen lds               // 00000000386C: E0511000 8005002B
	s_add_u32 m0, 0x200, s48                                   // 000000003874: 807C30FF 00000200
	v_fma_f32 v56, v8, v6, v56                                 // 00000000387C: D1CB0038 04E20D08
	v_fma_f32 v57, v9, v6, v57                                 // 000000003884: D1CB0039 04E60D09
	v_fma_f32 v58, v10, v6, v58                                // 00000000388C: D1CB003A 04EA0D0A
	v_fma_f32 v59, v11, v6, v59                                // 000000003894: D1CB003B 04EE0D0B
	v_mul_f32_dpp v4, v25, v38 row_newbcast:0 row_mask:0xf bank_mask:0xf// 00000000389C: 0A084CFA FF015019
	v_mfma_f32_16x16x32_fp8_fp8 v[8:11], a[80:81], a[40:41], 0 // 0000000038A4: D3F30008 1A025150
	v_mfma_f32_16x16x32_fp8_fp8 v[8:11], a[82:83], a[42:43], v[8:11]// 0000000038AC: D3F30008 1C225552
	buffer_load_dword v44, s[20:23], 0 offen lds               // 0000000038B4: E0511000 8005002C
	s_add_u32 m0, 0x300, s48                                   // 0000000038BC: 807C30FF 00000300
	v_mfma_f32_16x16x32_fp8_fp8 v[8:11], a[84:85], a[44:45], v[8:11]// 0000000038C4: D3F30008 1C225954
	v_mfma_f32_16x16x32_fp8_fp8 v[8:11], a[86:87], a[46:47], v[8:11]// 0000000038CC: D3F30008 1C225D56
	buffer_load_dword v45, s[20:23], 0 offen lds               // 0000000038D4: E0511000 8005002D
	s_add_u32 m0, 0x400, s48                                   // 0000000038DC: 807C30FF 00000400
	v_fma_f32 v68, v12, v6, v68                                // 0000000038E4: D1CB0044 05120D0C
	v_fma_f32 v69, v13, v6, v69                                // 0000000038EC: D1CB0045 05160D0D
	v_fma_f32 v70, v14, v6, v70                                // 0000000038F4: D1CB0046 051A0D0E
	v_fma_f32 v71, v15, v6, v71                                // 0000000038FC: D1CB0047 051E0D0F
	v_mfma_f32_16x16x32_fp8_fp8 v[12:15], a[88:89], a[40:41], 0// 000000003904: D3F3000C 1A025158
	v_mfma_f32_16x16x32_fp8_fp8 v[12:15], a[90:91], a[42:43], v[12:15]// 00000000390C: D3F3000C 1C32555A
	buffer_load_dword v46, s[20:23], 0 offen lds               // 000000003914: E0511000 8005002E
	s_add_u32 m0, 0x500, s48                                   // 00000000391C: 807C30FF 00000500
	v_mfma_f32_16x16x32_fp8_fp8 v[12:15], a[92:93], a[44:45], v[12:15]// 000000003924: D3F3000C 1C32595C
	v_mfma_f32_16x16x32_fp8_fp8 v[12:15], a[94:95], a[46:47], v[12:15]// 00000000392C: D3F3000C 1C325D5E
	buffer_load_dword v47, s[20:23], 0 offen lds               // 000000003934: E0511000 8005002F
	s_add_u32 m0, 0, s49                                       // 00000000393C: 807C3180
	v_fma_f32 v60, v8, v4, v60                                 // 000000003940: D1CB003C 04F20908
	v_fma_f32 v61, v9, v4, v61                                 // 000000003948: D1CB003D 04F60909
	v_fma_f32 v62, v10, v4, v62                                // 000000003950: D1CB003E 04FA090A
	v_fma_f32 v63, v11, v4, v63                                // 000000003958: D1CB003F 04FE090B
	v_fma_f32 v72, v12, v4, v72                                // 000000003960: D1CB0048 0522090C
	v_fma_f32 v73, v13, v4, v73                                // 000000003968: D1CB0049 0526090D
	v_fma_f32 v74, v14, v4, v74                                // 000000003970: D1CB004A 052A090E
	v_fma_f32 v75, v15, v4, v75                                // 000000003978: D1CB004B 052E090F
	buffer_load_dword v33, v30, s[28:31], 0 offen              // 000000003980: E0501000 8007211E
	buffer_load_dword v34, v31, s[28:31], 0 offen              // 000000003988: E0501000 8007221F
	buffer_load_dword v35, v32, s[28:31], 0 offen              // 000000003990: E0501000 80072320
	s_waitcnt vmcnt(14)                                        // 000000003998: BF8C0F7E
	s_barrier                                                  // 00000000399C: BF8A0000
	v_mul_f32_dpp v4, v28, v36 row_newbcast:0 row_mask:0xf bank_mask:0xf// 0000000039A0: 0A0848FA FF01501C
	v_mfma_f32_16x16x32_fp8_fp8 v[8:11], a[48:49], a[24:25], 0 // 0000000039A8: D3F30008 1A023130
	buffer_load_dword v29, v23, s[32:35], 0 offen              // 0000000039B0: E0501000 80081D17
	v_mfma_f32_16x16x32_fp8_fp8 v[8:11], a[50:51], a[26:27], v[8:11]// 0000000039B8: D3F30008 1C223532
	buffer_load_dwordx4 a[80:83], v48, s[84:87], 0 offen       // 0000000039C0: E05C1000 80955030
	v_mfma_f32_16x16x32_fp8_fp8 v[8:11], a[52:53], a[28:29], v[8:11]// 0000000039C8: D3F30008 1C223934
	v_mfma_f32_16x16x32_fp8_fp8 v[8:11], a[54:55], a[30:31], v[8:11]// 0000000039D0: D3F30008 1C223D36
	ds_read_b128 a[0:3], v2 offset:12544                       // 0000000039D8: DBFE3100 00000002
	ds_read_b128 a[4:7], v2 offset:12608                       // 0000000039E0: DBFE3140 04000002
	v_mfma_f32_16x16x32_fp8_fp8 v[12:15], a[56:57], a[24:25], 0// 0000000039E8: D3F3000C 1A023138
	v_mfma_f32_16x16x32_fp8_fp8 v[12:15], a[58:59], a[26:27], v[12:15]// 0000000039F0: D3F3000C 1C32353A
	buffer_load_dwordx4 a[84:87], v48, s[84:87], 0 offen offset:1024// 0000000039F8: E05C1400 80955430
	v_mfma_f32_16x16x32_fp8_fp8 v[12:15], a[60:61], a[28:29], v[12:15]// 000000003A00: D3F3000C 1C32393C
	v_mfma_f32_16x16x32_fp8_fp8 v[12:15], a[62:63], a[30:31], v[12:15]// 000000003A08: D3F3000C 1C323D3E
	ds_read_b128 a[8:11], v2 offset:13056                      // 000000003A10: DBFE3300 08000002
	ds_read_b128 a[12:15], v2 offset:13120                     // 000000003A18: DBFE3340 0C000002
	v_fma_f32 v76, v8, v4, v76                                 // 000000003A20: D1CB004C 05320908
	v_fma_f32 v77, v9, v4, v77                                 // 000000003A28: D1CB004D 05360909
	v_fma_f32 v78, v10, v4, v78                                // 000000003A30: D1CB004E 053A090A
	v_fma_f32 v79, v11, v4, v79                                // 000000003A38: D1CB004F 053E090B
	v_mul_f32_dpp v6, v28, v37 row_newbcast:0 row_mask:0xf bank_mask:0xf// 000000003A40: 0A0C4AFA FF01501C
	v_mfma_f32_16x16x32_fp8_fp8 v[8:11], a[48:49], a[32:33], 0 // 000000003A48: D3F30008 1A024130
	v_mfma_f32_16x16x32_fp8_fp8 v[8:11], a[50:51], a[34:35], v[8:11]// 000000003A50: D3F30008 1C224532
	buffer_load_dwordx4 a[88:91], v49, s[84:87], 0 offen       // 000000003A58: E05C1000 80955831
	v_mfma_f32_16x16x32_fp8_fp8 v[8:11], a[52:53], a[36:37], v[8:11]// 000000003A60: D3F30008 1C224934
	v_mfma_f32_16x16x32_fp8_fp8 v[8:11], a[54:55], a[38:39], v[8:11]// 000000003A68: D3F30008 1C224D36
	ds_read_b128 a[16:19], v2 offset:13568                     // 000000003A70: DBFE3500 10000002
	ds_read_b128 a[20:23], v2 offset:13632                     // 000000003A78: DBFE3540 14000002
	v_fma_f32 v88, v12, v4, v88                                // 000000003A80: D1CB0058 0562090C
	v_fma_f32 v89, v13, v4, v89                                // 000000003A88: D1CB0059 0566090D
	v_fma_f32 v90, v14, v4, v90                                // 000000003A90: D1CB005A 056A090E
	v_fma_f32 v91, v15, v4, v91                                // 000000003A98: D1CB005B 056E090F
	v_mfma_f32_16x16x32_fp8_fp8 v[12:15], a[56:57], a[32:33], 0// 000000003AA0: D3F3000C 1A024138
	v_mfma_f32_16x16x32_fp8_fp8 v[12:15], a[58:59], a[34:35], v[12:15]// 000000003AA8: D3F3000C 1C32453A
	buffer_load_dwordx4 a[92:95], v49, s[84:87], 0 offen offset:1024// 000000003AB0: E05C1400 80955C31
	v_mfma_f32_16x16x32_fp8_fp8 v[12:15], a[60:61], a[36:37], v[12:15]// 000000003AB8: D3F3000C 1C32493C
	v_mfma_f32_16x16x32_fp8_fp8 v[12:15], a[62:63], a[38:39], v[12:15]// 000000003AC0: D3F3000C 1C324D3E
	v_fma_f32 v80, v8, v6, v80                                 // 000000003AC8: D1CB0050 05420D08
	v_fma_f32 v81, v9, v6, v81                                 // 000000003AD0: D1CB0051 05460D09
	v_fma_f32 v82, v10, v6, v82                                // 000000003AD8: D1CB0052 054A0D0A
	v_fma_f32 v83, v11, v6, v83                                // 000000003AE0: D1CB0053 054E0D0B
	v_mul_f32_dpp v4, v28, v38 row_newbcast:0 row_mask:0xf bank_mask:0xf// 000000003AE8: 0A084CFA FF01501C
	v_mfma_f32_16x16x32_fp8_fp8 v[8:11], a[48:49], a[40:41], 0 // 000000003AF0: D3F30008 1A025130
	s_add_u32 s60, 0x180, s80                                  // 000000003AF8: 803C50FF 00000180
	s_cmp_lt_u32 s60, s81                                      // 000000003B00: BF0A513C
	s_cselect_b32 s57, s57, 0                                  // 000000003B04: 85398039
	s_cselect_b32 s3, s3, 0                                    // 000000003B08: 85038003
	v_mfma_f32_16x16x32_fp8_fp8 v[8:11], a[50:51], a[42:43], v[8:11]// 000000003B0C: D3F30008 1C225532
	s_add_u32 s60, 0x100, s80                                  // 000000003B14: 803C50FF 00000100
	s_cmp_lt_u32 s60, s81                                      // 000000003B1C: BF0A513C
	s_cselect_b32 s58, s58, 0                                  // 000000003B20: 853A803A
	v_mfma_f32_16x16x32_fp8_fp8 v[8:11], a[52:53], a[44:45], v[8:11]// 000000003B24: D3F30008 1C225934
	s_add_u32 s60, 0x100, s80                                  // 000000003B2C: 803C50FF 00000100
	s_cmp_lt_u32 s60, s81                                      // 000000003B34: BF0A513C
	s_cselect_b32 s83, s83, 0                                  // 000000003B38: 85538053
	s_cselect_b32 s4, s4, 0                                    // 000000003B3C: 85048004
	v_mfma_f32_16x16x32_fp8_fp8 v[8:11], a[54:55], a[46:47], v[8:11]// 000000003B40: D3F30008 1C225D36
	s_add_u32 s24, s58, s24                                    // 000000003B48: 8018183A
	s_addc_u32 s25, 0, s25                                     // 000000003B4C: 82191980
	v_fma_f32 v92, v12, v6, v92                                // 000000003B50: D1CB005C 05720D0C
	v_fma_f32 v93, v13, v6, v93                                // 000000003B58: D1CB005D 05760D0D
	v_fma_f32 v94, v14, v6, v94                                // 000000003B60: D1CB005E 057A0D0E
	v_fma_f32 v95, v15, v6, v95                                // 000000003B68: D1CB005F 057E0D0F
	v_mfma_f32_16x16x32_fp8_fp8 v[12:15], a[56:57], a[40:41], 0// 000000003B70: D3F3000C 1A025138
	s_add_u32 s20, s57, s20                                    // 000000003B78: 80141439
	s_addc_u32 s21, 0, s21                                     // 000000003B7C: 82151580
	s_add_u32 s28, s3, s28                                     // 000000003B80: 801C1C03
	s_addc_u32 s29, 0, s29                                     // 000000003B84: 821D1D80
	v_mfma_f32_16x16x32_fp8_fp8 v[12:15], a[58:59], a[42:43], v[12:15]// 000000003B88: D3F3000C 1C32553A
	s_add_u32 s84, s83, s84                                    // 000000003B90: 80545453
	s_addc_u32 s85, 0, s85                                     // 000000003B94: 82555580
	v_mfma_f32_16x16x32_fp8_fp8 v[12:15], a[60:61], a[44:45], v[12:15]// 000000003B98: D3F3000C 1C32593C
	s_add_u32 s32, s4, s32                                     // 000000003BA0: 80202004
	s_addc_u32 s33, 0, s33                                     // 000000003BA4: 82212180
	v_mfma_f32_16x16x32_fp8_fp8 v[12:15], a[62:63], a[46:47], v[12:15]// 000000003BA8: D3F3000C 1C325D3E
	v_fma_f32 v84, v8, v4, v84                                 // 000000003BB0: D1CB0054 05520908
	v_fma_f32 v85, v9, v4, v85                                 // 000000003BB8: D1CB0055 05560909
	v_fma_f32 v86, v10, v4, v86                                // 000000003BC0: D1CB0056 055A090A
	v_fma_f32 v87, v11, v4, v87                                // 000000003BC8: D1CB0057 055E090B
	v_fma_f32 v96, v12, v4, v96                                // 000000003BD0: D1CB0060 0582090C
	v_fma_f32 v97, v13, v4, v97                                // 000000003BD8: D1CB0061 0586090D
	v_fma_f32 v98, v14, v4, v98                                // 000000003BE0: D1CB0062 058A090E
	v_fma_f32 v99, v15, v4, v99                                // 000000003BE8: D1CB0063 058E090F
	s_addk_i32 s80, 0x80                                       // 000000003BF0: B7500080
	s_cmp_lt_i32 s80, s81                                      // 000000003BF4: BF045150
	s_cbranch_scc0 label_091C                                  // 000000003BF8: BF84049D
	s_waitcnt vmcnt(14) lgkmcnt(0)                             // 000000003BFC: BF8C007E
	v_mul_f32_dpp v4, v26, v39 row_newbcast:0 row_mask:0xf bank_mask:0xf// 000000003C00: 0A084EFA FF01501A
	v_mfma_f32_16x16x32_fp8_fp8 v[8:11], a[64:65], a[0:1], 0   // 000000003C08: D3F30008 1A020140
	buffer_load_dword v24, v22, s[32:35], 0 offen              // 000000003C10: E0501000 80081816
	v_mfma_f32_16x16x32_fp8_fp8 v[8:11], a[66:67], a[2:3], v[8:11]// 000000003C18: D3F30008 1C220542
	buffer_load_dwordx4 a[48:51], v48, s[24:27], 0 offen       // 000000003C20: E05C1000 80863030
	v_mfma_f32_16x16x32_fp8_fp8 v[8:11], a[68:69], a[4:5], v[8:11]// 000000003C28: D3F30008 1C220944
	v_mfma_f32_16x16x32_fp8_fp8 v[8:11], a[70:71], a[6:7], v[8:11]// 000000003C30: D3F30008 1C220D46
	v_mfma_f32_16x16x32_fp8_fp8 v[12:15], a[72:73], a[0:1], 0  // 000000003C38: D3F3000C 1A020148
	v_mfma_f32_16x16x32_fp8_fp8 v[12:15], a[74:75], a[2:3], v[12:15]// 000000003C40: D3F3000C 1C32054A
	buffer_load_dwordx4 a[52:55], v48, s[24:27], 0 offen offset:1024// 000000003C48: E05C1400 80863430
	v_mfma_f32_16x16x32_fp8_fp8 v[12:15], a[76:77], a[4:5], v[12:15]// 000000003C50: D3F3000C 1C32094C
	v_mfma_f32_16x16x32_fp8_fp8 v[12:15], a[78:79], a[6:7], v[12:15]// 000000003C58: D3F3000C 1C320D4E
	v_fma_f32 v52, v8, v4, v52                                 // 000000003C60: D1CB0034 04D20908
	v_fma_f32 v53, v9, v4, v53                                 // 000000003C68: D1CB0035 04D60909
	v_fma_f32 v54, v10, v4, v54                                // 000000003C70: D1CB0036 04DA090A
	v_fma_f32 v55, v11, v4, v55                                // 000000003C78: D1CB0037 04DE090B
	v_mul_f32_dpp v6, v26, v40 row_newbcast:0 row_mask:0xf bank_mask:0xf// 000000003C80: 0A0C50FA FF01501A
	v_mfma_f32_16x16x32_fp8_fp8 v[8:11], a[64:65], a[8:9], 0   // 000000003C88: D3F30008 1A021140
	v_mfma_f32_16x16x32_fp8_fp8 v[8:11], a[66:67], a[10:11], v[8:11]// 000000003C90: D3F30008 1C221542
	buffer_load_dwordx4 a[56:59], v49, s[24:27], 0 offen       // 000000003C98: E05C1000 80863831
	v_mfma_f32_16x16x32_fp8_fp8 v[8:11], a[68:69], a[12:13], v[8:11]// 000000003CA0: D3F30008 1C221944
	v_mfma_f32_16x16x32_fp8_fp8 v[8:11], a[70:71], a[14:15], v[8:11]// 000000003CA8: D3F30008 1C221D46
	v_fma_f32 v64, v12, v4, v64                                // 000000003CB0: D1CB0040 0502090C
	v_fma_f32 v65, v13, v4, v65                                // 000000003CB8: D1CB0041 0506090D
	v_fma_f32 v66, v14, v4, v66                                // 000000003CC0: D1CB0042 050A090E
	v_fma_f32 v67, v15, v4, v67                                // 000000003CC8: D1CB0043 050E090F
	v_mfma_f32_16x16x32_fp8_fp8 v[12:15], a[72:73], a[8:9], 0  // 000000003CD0: D3F3000C 1A021148
	v_mfma_f32_16x16x32_fp8_fp8 v[12:15], a[74:75], a[10:11], v[12:15]// 000000003CD8: D3F3000C 1C32154A
	buffer_load_dwordx4 a[60:63], v49, s[24:27], 0 offen offset:1024// 000000003CE0: E05C1400 80863C31
	buffer_load_dword v42, s[20:23], 0 offen lds               // 000000003CE8: E0511000 8005002A
	s_add_u32 m0, 0x100, s49                                   // 000000003CF0: 807C31FF 00000100
	v_mfma_f32_16x16x32_fp8_fp8 v[12:15], a[76:77], a[12:13], v[12:15]// 000000003CF8: D3F3000C 1C32194C
	v_mfma_f32_16x16x32_fp8_fp8 v[12:15], a[78:79], a[14:15], v[12:15]// 000000003D00: D3F3000C 1C321D4E
	buffer_load_dword v43, s[20:23], 0 offen lds               // 000000003D08: E0511000 8005002B
	s_add_u32 m0, 0x200, s49                                   // 000000003D10: 807C31FF 00000200
	v_fma_f32 v56, v8, v6, v56                                 // 000000003D18: D1CB0038 04E20D08
	v_fma_f32 v57, v9, v6, v57                                 // 000000003D20: D1CB0039 04E60D09
	v_fma_f32 v58, v10, v6, v58                                // 000000003D28: D1CB003A 04EA0D0A
	v_fma_f32 v59, v11, v6, v59                                // 000000003D30: D1CB003B 04EE0D0B
	v_mul_f32_dpp v4, v26, v41 row_newbcast:0 row_mask:0xf bank_mask:0xf// 000000003D38: 0A0852FA FF01501A
	v_mfma_f32_16x16x32_fp8_fp8 v[8:11], a[64:65], a[16:17], 0 // 000000003D40: D3F30008 1A022140
	v_mfma_f32_16x16x32_fp8_fp8 v[8:11], a[66:67], a[18:19], v[8:11]// 000000003D48: D3F30008 1C222542
	buffer_load_dword v44, s[20:23], 0 offen lds               // 000000003D50: E0511000 8005002C
	s_add_u32 m0, 0x300, s49                                   // 000000003D58: 807C31FF 00000300
	v_mfma_f32_16x16x32_fp8_fp8 v[8:11], a[68:69], a[20:21], v[8:11]// 000000003D60: D3F30008 1C222944
	v_mfma_f32_16x16x32_fp8_fp8 v[8:11], a[70:71], a[22:23], v[8:11]// 000000003D68: D3F30008 1C222D46
	buffer_load_dword v45, s[20:23], 0 offen lds               // 000000003D70: E0511000 8005002D
	s_add_u32 m0, 0x400, s49                                   // 000000003D78: 807C31FF 00000400
	v_fma_f32 v68, v12, v6, v68                                // 000000003D80: D1CB0044 05120D0C
	v_fma_f32 v69, v13, v6, v69                                // 000000003D88: D1CB0045 05160D0D
	v_fma_f32 v70, v14, v6, v70                                // 000000003D90: D1CB0046 051A0D0E
	v_fma_f32 v71, v15, v6, v71                                // 000000003D98: D1CB0047 051E0D0F
	v_mfma_f32_16x16x32_fp8_fp8 v[12:15], a[72:73], a[16:17], 0// 000000003DA0: D3F3000C 1A022148
	v_mfma_f32_16x16x32_fp8_fp8 v[12:15], a[74:75], a[18:19], v[12:15]// 000000003DA8: D3F3000C 1C32254A
	buffer_load_dword v46, s[20:23], 0 offen lds               // 000000003DB0: E0511000 8005002E
	s_add_u32 m0, 0x500, s49                                   // 000000003DB8: 807C31FF 00000500
	v_mfma_f32_16x16x32_fp8_fp8 v[12:15], a[76:77], a[20:21], v[12:15]// 000000003DC0: D3F3000C 1C32294C
	v_mfma_f32_16x16x32_fp8_fp8 v[12:15], a[78:79], a[22:23], v[12:15]// 000000003DC8: D3F3000C 1C322D4E
	buffer_load_dword v47, s[20:23], 0 offen lds               // 000000003DD0: E0511000 8005002F
	s_add_u32 m0, 0, s50                                       // 000000003DD8: 807C3280
	v_fma_f32 v60, v8, v4, v60                                 // 000000003DDC: D1CB003C 04F20908
	v_fma_f32 v61, v9, v4, v61                                 // 000000003DE4: D1CB003D 04F60909
	v_fma_f32 v62, v10, v4, v62                                // 000000003DEC: D1CB003E 04FA090A
	v_fma_f32 v63, v11, v4, v63                                // 000000003DF4: D1CB003F 04FE090B
	v_fma_f32 v72, v12, v4, v72                                // 000000003DFC: D1CB0048 0522090C
	v_fma_f32 v73, v13, v4, v73                                // 000000003E04: D1CB0049 0526090D
	v_fma_f32 v74, v14, v4, v74                                // 000000003E0C: D1CB004A 052A090E
	v_fma_f32 v75, v15, v4, v75                                // 000000003E14: D1CB004B 052E090F
	buffer_load_dword v36, v30, s[28:31], 0 offen              // 000000003E1C: E0501000 8007241E
	buffer_load_dword v37, v31, s[28:31], 0 offen              // 000000003E24: E0501000 8007251F
	buffer_load_dword v38, v32, s[28:31], 0 offen              // 000000003E2C: E0501000 80072620
	s_waitcnt vmcnt(14)                                        // 000000003E34: BF8C0F7E
	s_barrier                                                  // 000000003E38: BF8A0000
	v_mul_f32_dpp v4, v29, v39 row_newbcast:0 row_mask:0xf bank_mask:0xf// 000000003E3C: 0A084EFA FF01501D
	v_mfma_f32_16x16x32_fp8_fp8 v[8:11], a[80:81], a[0:1], 0   // 000000003E44: D3F30008 1A020150
	buffer_load_dword v27, v23, s[32:35], 0 offen              // 000000003E4C: E0501000 80081B17
	v_mfma_f32_16x16x32_fp8_fp8 v[8:11], a[82:83], a[2:3], v[8:11]// 000000003E54: D3F30008 1C220552
	buffer_load_dwordx4 a[64:67], v48, s[84:87], 0 offen       // 000000003E5C: E05C1000 80954030
	v_mfma_f32_16x16x32_fp8_fp8 v[8:11], a[84:85], a[4:5], v[8:11]// 000000003E64: D3F30008 1C220954
	v_mfma_f32_16x16x32_fp8_fp8 v[8:11], a[86:87], a[6:7], v[8:11]// 000000003E6C: D3F30008 1C220D56
	ds_read_b128 a[24:27], v2                                  // 000000003E74: DBFE0000 18000002
	ds_read_b128 a[28:31], v2 offset:64                        // 000000003E7C: DBFE0040 1C000002
	v_mfma_f32_16x16x32_fp8_fp8 v[12:15], a[88:89], a[0:1], 0  // 000000003E84: D3F3000C 1A020158
	v_mfma_f32_16x16x32_fp8_fp8 v[12:15], a[90:91], a[2:3], v[12:15]// 000000003E8C: D3F3000C 1C32055A
	buffer_load_dwordx4 a[68:71], v48, s[84:87], 0 offen offset:1024// 000000003E94: E05C1400 80954430
	v_mfma_f32_16x16x32_fp8_fp8 v[12:15], a[92:93], a[4:5], v[12:15]// 000000003E9C: D3F3000C 1C32095C
	v_mfma_f32_16x16x32_fp8_fp8 v[12:15], a[94:95], a[6:7], v[12:15]// 000000003EA4: D3F3000C 1C320D5E
	ds_read_b128 a[32:35], v2 offset:512                       // 000000003EAC: DBFE0200 20000002
	ds_read_b128 a[36:39], v2 offset:576                       // 000000003EB4: DBFE0240 24000002
	v_fma_f32 v76, v8, v4, v76                                 // 000000003EBC: D1CB004C 05320908
	v_fma_f32 v77, v9, v4, v77                                 // 000000003EC4: D1CB004D 05360909
	v_fma_f32 v78, v10, v4, v78                                // 000000003ECC: D1CB004E 053A090A
	v_fma_f32 v79, v11, v4, v79                                // 000000003ED4: D1CB004F 053E090B
	v_mul_f32_dpp v6, v29, v40 row_newbcast:0 row_mask:0xf bank_mask:0xf// 000000003EDC: 0A0C50FA FF01501D
	v_mfma_f32_16x16x32_fp8_fp8 v[8:11], a[80:81], a[8:9], 0   // 000000003EE4: D3F30008 1A021150
	v_mfma_f32_16x16x32_fp8_fp8 v[8:11], a[82:83], a[10:11], v[8:11]// 000000003EEC: D3F30008 1C221552
	buffer_load_dwordx4 a[72:75], v49, s[84:87], 0 offen       // 000000003EF4: E05C1000 80954831
	v_mfma_f32_16x16x32_fp8_fp8 v[8:11], a[84:85], a[12:13], v[8:11]// 000000003EFC: D3F30008 1C221954
	v_mfma_f32_16x16x32_fp8_fp8 v[8:11], a[86:87], a[14:15], v[8:11]// 000000003F04: D3F30008 1C221D56
	ds_read_b128 a[40:43], v2 offset:1024                      // 000000003F0C: DBFE0400 28000002
	ds_read_b128 a[44:47], v2 offset:1088                      // 000000003F14: DBFE0440 2C000002
	v_fma_f32 v88, v12, v4, v88                                // 000000003F1C: D1CB0058 0562090C
	v_fma_f32 v89, v13, v4, v89                                // 000000003F24: D1CB0059 0566090D
	v_fma_f32 v90, v14, v4, v90                                // 000000003F2C: D1CB005A 056A090E
	v_fma_f32 v91, v15, v4, v91                                // 000000003F34: D1CB005B 056E090F
	v_mfma_f32_16x16x32_fp8_fp8 v[12:15], a[88:89], a[8:9], 0  // 000000003F3C: D3F3000C 1A021158
	v_mfma_f32_16x16x32_fp8_fp8 v[12:15], a[90:91], a[10:11], v[12:15]// 000000003F44: D3F3000C 1C32155A
	buffer_load_dwordx4 a[76:79], v49, s[84:87], 0 offen offset:1024// 000000003F4C: E05C1400 80954C31
	v_mfma_f32_16x16x32_fp8_fp8 v[12:15], a[92:93], a[12:13], v[12:15]// 000000003F54: D3F3000C 1C32195C
	v_mfma_f32_16x16x32_fp8_fp8 v[12:15], a[94:95], a[14:15], v[12:15]// 000000003F5C: D3F3000C 1C321D5E
	v_fma_f32 v80, v8, v6, v80                                 // 000000003F64: D1CB0050 05420D08
	v_fma_f32 v81, v9, v6, v81                                 // 000000003F6C: D1CB0051 05460D09
	v_fma_f32 v82, v10, v6, v82                                // 000000003F74: D1CB0052 054A0D0A
	v_fma_f32 v83, v11, v6, v83                                // 000000003F7C: D1CB0053 054E0D0B
	v_mul_f32_dpp v4, v29, v41 row_newbcast:0 row_mask:0xf bank_mask:0xf// 000000003F84: 0A0852FA FF01501D
	v_mfma_f32_16x16x32_fp8_fp8 v[8:11], a[80:81], a[16:17], 0 // 000000003F8C: D3F30008 1A022150
	s_add_u32 s60, 0x180, s80                                  // 000000003F94: 803C50FF 00000180
	s_cmp_lt_u32 s60, s81                                      // 000000003F9C: BF0A513C
	s_cselect_b32 s57, s57, 0                                  // 000000003FA0: 85398039
	s_cselect_b32 s3, s3, 0                                    // 000000003FA4: 85038003
	v_mfma_f32_16x16x32_fp8_fp8 v[8:11], a[82:83], a[18:19], v[8:11]// 000000003FA8: D3F30008 1C222552
	s_add_u32 s60, 0x100, s80                                  // 000000003FB0: 803C50FF 00000100
	s_cmp_lt_u32 s60, s81                                      // 000000003FB8: BF0A513C
	s_cselect_b32 s58, s58, 0                                  // 000000003FBC: 853A803A
	v_mfma_f32_16x16x32_fp8_fp8 v[8:11], a[84:85], a[20:21], v[8:11]// 000000003FC0: D3F30008 1C222954
	s_add_u32 s60, 0x100, s80                                  // 000000003FC8: 803C50FF 00000100
	s_cmp_lt_u32 s60, s81                                      // 000000003FD0: BF0A513C
	s_cselect_b32 s83, s83, 0                                  // 000000003FD4: 85538053
	s_cselect_b32 s4, s4, 0                                    // 000000003FD8: 85048004
	v_mfma_f32_16x16x32_fp8_fp8 v[8:11], a[86:87], a[22:23], v[8:11]// 000000003FDC: D3F30008 1C222D56
	s_add_u32 s24, s58, s24                                    // 000000003FE4: 8018183A
	s_addc_u32 s25, 0, s25                                     // 000000003FE8: 82191980
	v_fma_f32 v92, v12, v6, v92                                // 000000003FEC: D1CB005C 05720D0C
	v_fma_f32 v93, v13, v6, v93                                // 000000003FF4: D1CB005D 05760D0D
	v_fma_f32 v94, v14, v6, v94                                // 000000003FFC: D1CB005E 057A0D0E
	v_fma_f32 v95, v15, v6, v95                                // 000000004004: D1CB005F 057E0D0F
	v_mfma_f32_16x16x32_fp8_fp8 v[12:15], a[88:89], a[16:17], 0// 00000000400C: D3F3000C 1A022158
	s_add_u32 s20, s57, s20                                    // 000000004014: 80141439
	s_addc_u32 s21, 0, s21                                     // 000000004018: 82151580
	s_add_u32 s28, s3, s28                                     // 00000000401C: 801C1C03
	s_addc_u32 s29, 0, s29                                     // 000000004020: 821D1D80
	v_mfma_f32_16x16x32_fp8_fp8 v[12:15], a[90:91], a[18:19], v[12:15]// 000000004024: D3F3000C 1C32255A
	s_add_u32 s84, s83, s84                                    // 00000000402C: 80545453
	s_addc_u32 s85, 0, s85                                     // 000000004030: 82555580
	v_mfma_f32_16x16x32_fp8_fp8 v[12:15], a[92:93], a[20:21], v[12:15]// 000000004034: D3F3000C 1C32295C
	s_add_u32 s32, s4, s32                                     // 00000000403C: 80202004
	s_addc_u32 s33, 0, s33                                     // 000000004040: 82212180
	v_mfma_f32_16x16x32_fp8_fp8 v[12:15], a[94:95], a[22:23], v[12:15]// 000000004044: D3F3000C 1C322D5E
	v_fma_f32 v84, v8, v4, v84                                 // 00000000404C: D1CB0054 05520908
	v_fma_f32 v85, v9, v4, v85                                 // 000000004054: D1CB0055 05560909
	v_fma_f32 v86, v10, v4, v86                                // 00000000405C: D1CB0056 055A090A
	v_fma_f32 v87, v11, v4, v87                                // 000000004064: D1CB0057 055E090B
	v_fma_f32 v96, v12, v4, v96                                // 00000000406C: D1CB0060 0582090C
	v_fma_f32 v97, v13, v4, v97                                // 000000004074: D1CB0061 0586090D
	v_fma_f32 v98, v14, v4, v98                                // 00000000407C: D1CB0062 058A090E
	v_fma_f32 v99, v15, v4, v99                                // 000000004084: D1CB0063 058E090F
	s_addk_i32 s80, 0x80                                       // 00000000408C: B7500080
	s_cmp_lt_i32 s80, s81                                      // 000000004090: BF045150
	s_cbranch_scc0 label_091C                                  // 000000004094: BF840376
	s_waitcnt vmcnt(14) lgkmcnt(0)                             // 000000004098: BF8C007E
	v_mul_f32_dpp v4, v24, v33 row_newbcast:0 row_mask:0xf bank_mask:0xf// 00000000409C: 0A0842FA FF015018
	v_mfma_f32_16x16x32_fp8_fp8 v[8:11], a[48:49], a[24:25], 0 // 0000000040A4: D3F30008 1A023130
	buffer_load_dword v25, v22, s[32:35], 0 offen              // 0000000040AC: E0501000 80081916
	v_mfma_f32_16x16x32_fp8_fp8 v[8:11], a[50:51], a[26:27], v[8:11]// 0000000040B4: D3F30008 1C223532
	buffer_load_dwordx4 a[80:83], v48, s[24:27], 0 offen       // 0000000040BC: E05C1000 80865030
	v_mfma_f32_16x16x32_fp8_fp8 v[8:11], a[52:53], a[28:29], v[8:11]// 0000000040C4: D3F30008 1C223934
	v_mfma_f32_16x16x32_fp8_fp8 v[8:11], a[54:55], a[30:31], v[8:11]// 0000000040CC: D3F30008 1C223D36
	v_mfma_f32_16x16x32_fp8_fp8 v[12:15], a[56:57], a[24:25], 0// 0000000040D4: D3F3000C 1A023138
	v_mfma_f32_16x16x32_fp8_fp8 v[12:15], a[58:59], a[26:27], v[12:15]// 0000000040DC: D3F3000C 1C32353A
	buffer_load_dwordx4 a[84:87], v48, s[24:27], 0 offen offset:1024// 0000000040E4: E05C1400 80865430
	v_mfma_f32_16x16x32_fp8_fp8 v[12:15], a[60:61], a[28:29], v[12:15]// 0000000040EC: D3F3000C 1C32393C
	v_mfma_f32_16x16x32_fp8_fp8 v[12:15], a[62:63], a[30:31], v[12:15]// 0000000040F4: D3F3000C 1C323D3E
	v_fma_f32 v52, v8, v4, v52                                 // 0000000040FC: D1CB0034 04D20908
	v_fma_f32 v53, v9, v4, v53                                 // 000000004104: D1CB0035 04D60909
	v_fma_f32 v54, v10, v4, v54                                // 00000000410C: D1CB0036 04DA090A
	v_fma_f32 v55, v11, v4, v55                                // 000000004114: D1CB0037 04DE090B
	v_mul_f32_dpp v6, v24, v34 row_newbcast:0 row_mask:0xf bank_mask:0xf// 00000000411C: 0A0C44FA FF015018
	v_mfma_f32_16x16x32_fp8_fp8 v[8:11], a[48:49], a[32:33], 0 // 000000004124: D3F30008 1A024130
	v_mfma_f32_16x16x32_fp8_fp8 v[8:11], a[50:51], a[34:35], v[8:11]// 00000000412C: D3F30008 1C224532
	buffer_load_dwordx4 a[88:91], v49, s[24:27], 0 offen       // 000000004134: E05C1000 80865831
	v_mfma_f32_16x16x32_fp8_fp8 v[8:11], a[52:53], a[36:37], v[8:11]// 00000000413C: D3F30008 1C224934
	v_mfma_f32_16x16x32_fp8_fp8 v[8:11], a[54:55], a[38:39], v[8:11]// 000000004144: D3F30008 1C224D36
	v_fma_f32 v64, v12, v4, v64                                // 00000000414C: D1CB0040 0502090C
	v_fma_f32 v65, v13, v4, v65                                // 000000004154: D1CB0041 0506090D
	v_fma_f32 v66, v14, v4, v66                                // 00000000415C: D1CB0042 050A090E
	v_fma_f32 v67, v15, v4, v67                                // 000000004164: D1CB0043 050E090F
	v_mfma_f32_16x16x32_fp8_fp8 v[12:15], a[56:57], a[32:33], 0// 00000000416C: D3F3000C 1A024138
	v_mfma_f32_16x16x32_fp8_fp8 v[12:15], a[58:59], a[34:35], v[12:15]// 000000004174: D3F3000C 1C32453A
	buffer_load_dwordx4 a[92:95], v49, s[24:27], 0 offen offset:1024// 00000000417C: E05C1400 80865C31
	buffer_load_dword v42, s[20:23], 0 offen lds               // 000000004184: E0511000 8005002A
	s_add_u32 m0, 0x100, s50                                   // 00000000418C: 807C32FF 00000100
	v_mfma_f32_16x16x32_fp8_fp8 v[12:15], a[60:61], a[36:37], v[12:15]// 000000004194: D3F3000C 1C32493C
	v_mfma_f32_16x16x32_fp8_fp8 v[12:15], a[62:63], a[38:39], v[12:15]// 00000000419C: D3F3000C 1C324D3E
	buffer_load_dword v43, s[20:23], 0 offen lds               // 0000000041A4: E0511000 8005002B
	s_add_u32 m0, 0x200, s50                                   // 0000000041AC: 807C32FF 00000200
	v_fma_f32 v56, v8, v6, v56                                 // 0000000041B4: D1CB0038 04E20D08
	v_fma_f32 v57, v9, v6, v57                                 // 0000000041BC: D1CB0039 04E60D09
	v_fma_f32 v58, v10, v6, v58                                // 0000000041C4: D1CB003A 04EA0D0A
	v_fma_f32 v59, v11, v6, v59                                // 0000000041CC: D1CB003B 04EE0D0B
	v_mul_f32_dpp v4, v24, v35 row_newbcast:0 row_mask:0xf bank_mask:0xf// 0000000041D4: 0A0846FA FF015018
	v_mfma_f32_16x16x32_fp8_fp8 v[8:11], a[48:49], a[40:41], 0 // 0000000041DC: D3F30008 1A025130
	v_mfma_f32_16x16x32_fp8_fp8 v[8:11], a[50:51], a[42:43], v[8:11]// 0000000041E4: D3F30008 1C225532
	buffer_load_dword v44, s[20:23], 0 offen lds               // 0000000041EC: E0511000 8005002C
	s_add_u32 m0, 0x300, s50                                   // 0000000041F4: 807C32FF 00000300
	v_mfma_f32_16x16x32_fp8_fp8 v[8:11], a[52:53], a[44:45], v[8:11]// 0000000041FC: D3F30008 1C225934
	v_mfma_f32_16x16x32_fp8_fp8 v[8:11], a[54:55], a[46:47], v[8:11]// 000000004204: D3F30008 1C225D36
	buffer_load_dword v45, s[20:23], 0 offen lds               // 00000000420C: E0511000 8005002D
	s_add_u32 m0, 0x400, s50                                   // 000000004214: 807C32FF 00000400
	v_fma_f32 v68, v12, v6, v68                                // 00000000421C: D1CB0044 05120D0C
	v_fma_f32 v69, v13, v6, v69                                // 000000004224: D1CB0045 05160D0D
	v_fma_f32 v70, v14, v6, v70                                // 00000000422C: D1CB0046 051A0D0E
	v_fma_f32 v71, v15, v6, v71                                // 000000004234: D1CB0047 051E0D0F
	v_mfma_f32_16x16x32_fp8_fp8 v[12:15], a[56:57], a[40:41], 0// 00000000423C: D3F3000C 1A025138
	v_mfma_f32_16x16x32_fp8_fp8 v[12:15], a[58:59], a[42:43], v[12:15]// 000000004244: D3F3000C 1C32553A
	buffer_load_dword v46, s[20:23], 0 offen lds               // 00000000424C: E0511000 8005002E
	s_add_u32 m0, 0x500, s50                                   // 000000004254: 807C32FF 00000500
	v_mfma_f32_16x16x32_fp8_fp8 v[12:15], a[60:61], a[44:45], v[12:15]// 00000000425C: D3F3000C 1C32593C
	v_mfma_f32_16x16x32_fp8_fp8 v[12:15], a[62:63], a[46:47], v[12:15]// 000000004264: D3F3000C 1C325D3E
	buffer_load_dword v47, s[20:23], 0 offen lds               // 00000000426C: E0511000 8005002F
	s_add_u32 m0, 0, s48                                       // 000000004274: 807C3080
	v_fma_f32 v60, v8, v4, v60                                 // 000000004278: D1CB003C 04F20908
	v_fma_f32 v61, v9, v4, v61                                 // 000000004280: D1CB003D 04F60909
	v_fma_f32 v62, v10, v4, v62                                // 000000004288: D1CB003E 04FA090A
	v_fma_f32 v63, v11, v4, v63                                // 000000004290: D1CB003F 04FE090B
	v_fma_f32 v72, v12, v4, v72                                // 000000004298: D1CB0048 0522090C
	v_fma_f32 v73, v13, v4, v73                                // 0000000042A0: D1CB0049 0526090D
	v_fma_f32 v74, v14, v4, v74                                // 0000000042A8: D1CB004A 052A090E
	v_fma_f32 v75, v15, v4, v75                                // 0000000042B0: D1CB004B 052E090F
	buffer_load_dword v39, v30, s[28:31], 0 offen              // 0000000042B8: E0501000 8007271E
	buffer_load_dword v40, v31, s[28:31], 0 offen              // 0000000042C0: E0501000 8007281F
	buffer_load_dword v41, v32, s[28:31], 0 offen              // 0000000042C8: E0501000 80072920
	s_waitcnt vmcnt(14)                                        // 0000000042D0: BF8C0F7E
	s_barrier                                                  // 0000000042D4: BF8A0000
	v_mul_f32_dpp v4, v27, v33 row_newbcast:0 row_mask:0xf bank_mask:0xf// 0000000042D8: 0A0842FA FF01501B
	v_mfma_f32_16x16x32_fp8_fp8 v[8:11], a[64:65], a[24:25], 0 // 0000000042E0: D3F30008 1A023140
	buffer_load_dword v28, v23, s[32:35], 0 offen              // 0000000042E8: E0501000 80081C17
	v_mfma_f32_16x16x32_fp8_fp8 v[8:11], a[66:67], a[26:27], v[8:11]// 0000000042F0: D3F30008 1C223542
	buffer_load_dwordx4 a[48:51], v48, s[84:87], 0 offen       // 0000000042F8: E05C1000 80953030
	v_mfma_f32_16x16x32_fp8_fp8 v[8:11], a[68:69], a[28:29], v[8:11]// 000000004300: D3F30008 1C223944
	v_mfma_f32_16x16x32_fp8_fp8 v[8:11], a[70:71], a[30:31], v[8:11]// 000000004308: D3F30008 1C223D46
	ds_read_b128 a[0:3], v2 offset:6272                        // 000000004310: DBFE1880 00000002
	ds_read_b128 a[4:7], v2 offset:6336                        // 000000004318: DBFE18C0 04000002
	v_mfma_f32_16x16x32_fp8_fp8 v[12:15], a[72:73], a[24:25], 0// 000000004320: D3F3000C 1A023148
	v_mfma_f32_16x16x32_fp8_fp8 v[12:15], a[74:75], a[26:27], v[12:15]// 000000004328: D3F3000C 1C32354A
	buffer_load_dwordx4 a[52:55], v48, s[84:87], 0 offen offset:1024// 000000004330: E05C1400 80953430
	v_mfma_f32_16x16x32_fp8_fp8 v[12:15], a[76:77], a[28:29], v[12:15]// 000000004338: D3F3000C 1C32394C
	v_mfma_f32_16x16x32_fp8_fp8 v[12:15], a[78:79], a[30:31], v[12:15]// 000000004340: D3F3000C 1C323D4E
	ds_read_b128 a[8:11], v2 offset:6784                       // 000000004348: DBFE1A80 08000002
	ds_read_b128 a[12:15], v2 offset:6848                      // 000000004350: DBFE1AC0 0C000002
	v_fma_f32 v76, v8, v4, v76                                 // 000000004358: D1CB004C 05320908
	v_fma_f32 v77, v9, v4, v77                                 // 000000004360: D1CB004D 05360909
	v_fma_f32 v78, v10, v4, v78                                // 000000004368: D1CB004E 053A090A
	v_fma_f32 v79, v11, v4, v79                                // 000000004370: D1CB004F 053E090B
	v_mul_f32_dpp v6, v27, v34 row_newbcast:0 row_mask:0xf bank_mask:0xf// 000000004378: 0A0C44FA FF01501B
	v_mfma_f32_16x16x32_fp8_fp8 v[8:11], a[64:65], a[32:33], 0 // 000000004380: D3F30008 1A024140
	v_mfma_f32_16x16x32_fp8_fp8 v[8:11], a[66:67], a[34:35], v[8:11]// 000000004388: D3F30008 1C224542
	buffer_load_dwordx4 a[56:59], v49, s[84:87], 0 offen       // 000000004390: E05C1000 80953831
	v_mfma_f32_16x16x32_fp8_fp8 v[8:11], a[68:69], a[36:37], v[8:11]// 000000004398: D3F30008 1C224944
	v_mfma_f32_16x16x32_fp8_fp8 v[8:11], a[70:71], a[38:39], v[8:11]// 0000000043A0: D3F30008 1C224D46
	ds_read_b128 a[16:19], v2 offset:7296                      // 0000000043A8: DBFE1C80 10000002
	ds_read_b128 a[20:23], v2 offset:7360                      // 0000000043B0: DBFE1CC0 14000002
	v_fma_f32 v88, v12, v4, v88                                // 0000000043B8: D1CB0058 0562090C
	v_fma_f32 v89, v13, v4, v89                                // 0000000043C0: D1CB0059 0566090D
	v_fma_f32 v90, v14, v4, v90                                // 0000000043C8: D1CB005A 056A090E
	v_fma_f32 v91, v15, v4, v91                                // 0000000043D0: D1CB005B 056E090F
	v_mfma_f32_16x16x32_fp8_fp8 v[12:15], a[72:73], a[32:33], 0// 0000000043D8: D3F3000C 1A024148
	v_mfma_f32_16x16x32_fp8_fp8 v[12:15], a[74:75], a[34:35], v[12:15]// 0000000043E0: D3F3000C 1C32454A
	buffer_load_dwordx4 a[60:63], v49, s[84:87], 0 offen offset:1024// 0000000043E8: E05C1400 80953C31
	v_mfma_f32_16x16x32_fp8_fp8 v[12:15], a[76:77], a[36:37], v[12:15]// 0000000043F0: D3F3000C 1C32494C
	v_mfma_f32_16x16x32_fp8_fp8 v[12:15], a[78:79], a[38:39], v[12:15]// 0000000043F8: D3F3000C 1C324D4E
	v_fma_f32 v80, v8, v6, v80                                 // 000000004400: D1CB0050 05420D08
	v_fma_f32 v81, v9, v6, v81                                 // 000000004408: D1CB0051 05460D09
	v_fma_f32 v82, v10, v6, v82                                // 000000004410: D1CB0052 054A0D0A
	v_fma_f32 v83, v11, v6, v83                                // 000000004418: D1CB0053 054E0D0B
	v_mul_f32_dpp v4, v27, v35 row_newbcast:0 row_mask:0xf bank_mask:0xf// 000000004420: 0A0846FA FF01501B
	v_mfma_f32_16x16x32_fp8_fp8 v[8:11], a[64:65], a[40:41], 0 // 000000004428: D3F30008 1A025140
	s_add_u32 s60, 0x180, s80                                  // 000000004430: 803C50FF 00000180
	s_cmp_lt_u32 s60, s81                                      // 000000004438: BF0A513C
	s_cselect_b32 s57, s57, 0                                  // 00000000443C: 85398039
	s_cselect_b32 s3, s3, 0                                    // 000000004440: 85038003
	v_mfma_f32_16x16x32_fp8_fp8 v[8:11], a[66:67], a[42:43], v[8:11]// 000000004444: D3F30008 1C225542
	s_add_u32 s60, 0x100, s80                                  // 00000000444C: 803C50FF 00000100
	s_cmp_lt_u32 s60, s81                                      // 000000004454: BF0A513C
	s_cselect_b32 s58, s58, 0                                  // 000000004458: 853A803A
	v_mfma_f32_16x16x32_fp8_fp8 v[8:11], a[68:69], a[44:45], v[8:11]// 00000000445C: D3F30008 1C225944
	s_add_u32 s60, 0x100, s80                                  // 000000004464: 803C50FF 00000100
	s_cmp_lt_u32 s60, s81                                      // 00000000446C: BF0A513C
	s_cselect_b32 s83, s83, 0                                  // 000000004470: 85538053
	s_cselect_b32 s4, s4, 0                                    // 000000004474: 85048004
	v_mfma_f32_16x16x32_fp8_fp8 v[8:11], a[70:71], a[46:47], v[8:11]// 000000004478: D3F30008 1C225D46
	s_add_u32 s24, s58, s24                                    // 000000004480: 8018183A
	s_addc_u32 s25, 0, s25                                     // 000000004484: 82191980
	v_fma_f32 v92, v12, v6, v92                                // 000000004488: D1CB005C 05720D0C
	v_fma_f32 v93, v13, v6, v93                                // 000000004490: D1CB005D 05760D0D
	v_fma_f32 v94, v14, v6, v94                                // 000000004498: D1CB005E 057A0D0E
	v_fma_f32 v95, v15, v6, v95                                // 0000000044A0: D1CB005F 057E0D0F
	v_mfma_f32_16x16x32_fp8_fp8 v[12:15], a[72:73], a[40:41], 0// 0000000044A8: D3F3000C 1A025148
	s_add_u32 s20, s57, s20                                    // 0000000044B0: 80141439
	s_addc_u32 s21, 0, s21                                     // 0000000044B4: 82151580
	s_add_u32 s28, s3, s28                                     // 0000000044B8: 801C1C03
	s_addc_u32 s29, 0, s29                                     // 0000000044BC: 821D1D80
	v_mfma_f32_16x16x32_fp8_fp8 v[12:15], a[74:75], a[42:43], v[12:15]// 0000000044C0: D3F3000C 1C32554A
	s_add_u32 s84, s83, s84                                    // 0000000044C8: 80545453
	s_addc_u32 s85, 0, s85                                     // 0000000044CC: 82555580
	v_mfma_f32_16x16x32_fp8_fp8 v[12:15], a[76:77], a[44:45], v[12:15]// 0000000044D0: D3F3000C 1C32594C
	s_add_u32 s32, s4, s32                                     // 0000000044D8: 80202004
	s_addc_u32 s33, 0, s33                                     // 0000000044DC: 82212180
	v_mfma_f32_16x16x32_fp8_fp8 v[12:15], a[78:79], a[46:47], v[12:15]// 0000000044E0: D3F3000C 1C325D4E
	v_fma_f32 v84, v8, v4, v84                                 // 0000000044E8: D1CB0054 05520908
	v_fma_f32 v85, v9, v4, v85                                 // 0000000044F0: D1CB0055 05560909
	v_fma_f32 v86, v10, v4, v86                                // 0000000044F8: D1CB0056 055A090A
	v_fma_f32 v87, v11, v4, v87                                // 000000004500: D1CB0057 055E090B
	v_fma_f32 v96, v12, v4, v96                                // 000000004508: D1CB0060 0582090C
	v_fma_f32 v97, v13, v4, v97                                // 000000004510: D1CB0061 0586090D
	v_fma_f32 v98, v14, v4, v98                                // 000000004518: D1CB0062 058A090E
	v_fma_f32 v99, v15, v4, v99                                // 000000004520: D1CB0063 058E090F
	s_addk_i32 s80, 0x80                                       // 000000004528: B7500080
	s_cmp_lt_i32 s80, s81                                      // 00000000452C: BF045150
	s_cbranch_scc0 label_091C                                  // 000000004530: BF84024F
	s_waitcnt vmcnt(14) lgkmcnt(0)                             // 000000004534: BF8C007E
	v_mul_f32_dpp v4, v25, v36 row_newbcast:0 row_mask:0xf bank_mask:0xf// 000000004538: 0A0848FA FF015019
	v_mfma_f32_16x16x32_fp8_fp8 v[8:11], a[80:81], a[0:1], 0   // 000000004540: D3F30008 1A020150
	buffer_load_dword v26, v22, s[32:35], 0 offen              // 000000004548: E0501000 80081A16
	v_mfma_f32_16x16x32_fp8_fp8 v[8:11], a[82:83], a[2:3], v[8:11]// 000000004550: D3F30008 1C220552
	buffer_load_dwordx4 a[64:67], v48, s[24:27], 0 offen       // 000000004558: E05C1000 80864030
	v_mfma_f32_16x16x32_fp8_fp8 v[8:11], a[84:85], a[4:5], v[8:11]// 000000004560: D3F30008 1C220954
	v_mfma_f32_16x16x32_fp8_fp8 v[8:11], a[86:87], a[6:7], v[8:11]// 000000004568: D3F30008 1C220D56
	v_mfma_f32_16x16x32_fp8_fp8 v[12:15], a[88:89], a[0:1], 0  // 000000004570: D3F3000C 1A020158
	v_mfma_f32_16x16x32_fp8_fp8 v[12:15], a[90:91], a[2:3], v[12:15]// 000000004578: D3F3000C 1C32055A
	buffer_load_dwordx4 a[68:71], v48, s[24:27], 0 offen offset:1024// 000000004580: E05C1400 80864430
	v_mfma_f32_16x16x32_fp8_fp8 v[12:15], a[92:93], a[4:5], v[12:15]// 000000004588: D3F3000C 1C32095C
	v_mfma_f32_16x16x32_fp8_fp8 v[12:15], a[94:95], a[6:7], v[12:15]// 000000004590: D3F3000C 1C320D5E
	v_fma_f32 v52, v8, v4, v52                                 // 000000004598: D1CB0034 04D20908
	v_fma_f32 v53, v9, v4, v53                                 // 0000000045A0: D1CB0035 04D60909
	v_fma_f32 v54, v10, v4, v54                                // 0000000045A8: D1CB0036 04DA090A
	v_fma_f32 v55, v11, v4, v55                                // 0000000045B0: D1CB0037 04DE090B
	v_mul_f32_dpp v6, v25, v37 row_newbcast:0 row_mask:0xf bank_mask:0xf// 0000000045B8: 0A0C4AFA FF015019
	v_mfma_f32_16x16x32_fp8_fp8 v[8:11], a[80:81], a[8:9], 0   // 0000000045C0: D3F30008 1A021150
	v_mfma_f32_16x16x32_fp8_fp8 v[8:11], a[82:83], a[10:11], v[8:11]// 0000000045C8: D3F30008 1C221552
	buffer_load_dwordx4 a[72:75], v49, s[24:27], 0 offen       // 0000000045D0: E05C1000 80864831
	v_mfma_f32_16x16x32_fp8_fp8 v[8:11], a[84:85], a[12:13], v[8:11]// 0000000045D8: D3F30008 1C221954
	v_mfma_f32_16x16x32_fp8_fp8 v[8:11], a[86:87], a[14:15], v[8:11]// 0000000045E0: D3F30008 1C221D56
	v_fma_f32 v64, v12, v4, v64                                // 0000000045E8: D1CB0040 0502090C
	v_fma_f32 v65, v13, v4, v65                                // 0000000045F0: D1CB0041 0506090D
	v_fma_f32 v66, v14, v4, v66                                // 0000000045F8: D1CB0042 050A090E
	v_fma_f32 v67, v15, v4, v67                                // 000000004600: D1CB0043 050E090F
	v_mfma_f32_16x16x32_fp8_fp8 v[12:15], a[88:89], a[8:9], 0  // 000000004608: D3F3000C 1A021158
	v_mfma_f32_16x16x32_fp8_fp8 v[12:15], a[90:91], a[10:11], v[12:15]// 000000004610: D3F3000C 1C32155A
	buffer_load_dwordx4 a[76:79], v49, s[24:27], 0 offen offset:1024// 000000004618: E05C1400 80864C31
	buffer_load_dword v42, s[20:23], 0 offen lds               // 000000004620: E0511000 8005002A
	s_add_u32 m0, 0x100, s48                                   // 000000004628: 807C30FF 00000100
	v_mfma_f32_16x16x32_fp8_fp8 v[12:15], a[92:93], a[12:13], v[12:15]// 000000004630: D3F3000C 1C32195C
	v_mfma_f32_16x16x32_fp8_fp8 v[12:15], a[94:95], a[14:15], v[12:15]// 000000004638: D3F3000C 1C321D5E
	buffer_load_dword v43, s[20:23], 0 offen lds               // 000000004640: E0511000 8005002B
	s_add_u32 m0, 0x200, s48                                   // 000000004648: 807C30FF 00000200
	v_fma_f32 v56, v8, v6, v56                                 // 000000004650: D1CB0038 04E20D08
	v_fma_f32 v57, v9, v6, v57                                 // 000000004658: D1CB0039 04E60D09
	v_fma_f32 v58, v10, v6, v58                                // 000000004660: D1CB003A 04EA0D0A
	v_fma_f32 v59, v11, v6, v59                                // 000000004668: D1CB003B 04EE0D0B
	v_mul_f32_dpp v4, v25, v38 row_newbcast:0 row_mask:0xf bank_mask:0xf// 000000004670: 0A084CFA FF015019
	v_mfma_f32_16x16x32_fp8_fp8 v[8:11], a[80:81], a[16:17], 0 // 000000004678: D3F30008 1A022150
	v_mfma_f32_16x16x32_fp8_fp8 v[8:11], a[82:83], a[18:19], v[8:11]// 000000004680: D3F30008 1C222552
	buffer_load_dword v44, s[20:23], 0 offen lds               // 000000004688: E0511000 8005002C
	s_add_u32 m0, 0x300, s48                                   // 000000004690: 807C30FF 00000300
	v_mfma_f32_16x16x32_fp8_fp8 v[8:11], a[84:85], a[20:21], v[8:11]// 000000004698: D3F30008 1C222954
	v_mfma_f32_16x16x32_fp8_fp8 v[8:11], a[86:87], a[22:23], v[8:11]// 0000000046A0: D3F30008 1C222D56
	buffer_load_dword v45, s[20:23], 0 offen lds               // 0000000046A8: E0511000 8005002D
	s_add_u32 m0, 0x400, s48                                   // 0000000046B0: 807C30FF 00000400
	v_fma_f32 v68, v12, v6, v68                                // 0000000046B8: D1CB0044 05120D0C
	v_fma_f32 v69, v13, v6, v69                                // 0000000046C0: D1CB0045 05160D0D
	v_fma_f32 v70, v14, v6, v70                                // 0000000046C8: D1CB0046 051A0D0E
	v_fma_f32 v71, v15, v6, v71                                // 0000000046D0: D1CB0047 051E0D0F
	v_mfma_f32_16x16x32_fp8_fp8 v[12:15], a[88:89], a[16:17], 0// 0000000046D8: D3F3000C 1A022158
	v_mfma_f32_16x16x32_fp8_fp8 v[12:15], a[90:91], a[18:19], v[12:15]// 0000000046E0: D3F3000C 1C32255A
	buffer_load_dword v46, s[20:23], 0 offen lds               // 0000000046E8: E0511000 8005002E
	s_add_u32 m0, 0x500, s48                                   // 0000000046F0: 807C30FF 00000500
	v_mfma_f32_16x16x32_fp8_fp8 v[12:15], a[92:93], a[20:21], v[12:15]// 0000000046F8: D3F3000C 1C32295C
	v_mfma_f32_16x16x32_fp8_fp8 v[12:15], a[94:95], a[22:23], v[12:15]// 000000004700: D3F3000C 1C322D5E
	buffer_load_dword v47, s[20:23], 0 offen lds               // 000000004708: E0511000 8005002F
	s_add_u32 m0, 0, s49                                       // 000000004710: 807C3180
	v_fma_f32 v60, v8, v4, v60                                 // 000000004714: D1CB003C 04F20908
	v_fma_f32 v61, v9, v4, v61                                 // 00000000471C: D1CB003D 04F60909
	v_fma_f32 v62, v10, v4, v62                                // 000000004724: D1CB003E 04FA090A
	v_fma_f32 v63, v11, v4, v63                                // 00000000472C: D1CB003F 04FE090B
	v_fma_f32 v72, v12, v4, v72                                // 000000004734: D1CB0048 0522090C
	v_fma_f32 v73, v13, v4, v73                                // 00000000473C: D1CB0049 0526090D
	v_fma_f32 v74, v14, v4, v74                                // 000000004744: D1CB004A 052A090E
	v_fma_f32 v75, v15, v4, v75                                // 00000000474C: D1CB004B 052E090F
	buffer_load_dword v33, v30, s[28:31], 0 offen              // 000000004754: E0501000 8007211E
	buffer_load_dword v34, v31, s[28:31], 0 offen              // 00000000475C: E0501000 8007221F
	buffer_load_dword v35, v32, s[28:31], 0 offen              // 000000004764: E0501000 80072320
	s_waitcnt vmcnt(14)                                        // 00000000476C: BF8C0F7E
	s_barrier                                                  // 000000004770: BF8A0000
	v_mul_f32_dpp v4, v28, v36 row_newbcast:0 row_mask:0xf bank_mask:0xf// 000000004774: 0A0848FA FF01501C
	v_mfma_f32_16x16x32_fp8_fp8 v[8:11], a[48:49], a[0:1], 0   // 00000000477C: D3F30008 1A020130
	buffer_load_dword v29, v23, s[32:35], 0 offen              // 000000004784: E0501000 80081D17
	v_mfma_f32_16x16x32_fp8_fp8 v[8:11], a[50:51], a[2:3], v[8:11]// 00000000478C: D3F30008 1C220532
	buffer_load_dwordx4 a[80:83], v48, s[84:87], 0 offen       // 000000004794: E05C1000 80955030
	v_mfma_f32_16x16x32_fp8_fp8 v[8:11], a[52:53], a[4:5], v[8:11]// 00000000479C: D3F30008 1C220934
	v_mfma_f32_16x16x32_fp8_fp8 v[8:11], a[54:55], a[6:7], v[8:11]// 0000000047A4: D3F30008 1C220D36
	ds_read_b128 a[24:27], v2 offset:12544                     // 0000000047AC: DBFE3100 18000002
	ds_read_b128 a[28:31], v2 offset:12608                     // 0000000047B4: DBFE3140 1C000002
	v_mfma_f32_16x16x32_fp8_fp8 v[12:15], a[56:57], a[0:1], 0  // 0000000047BC: D3F3000C 1A020138
	v_mfma_f32_16x16x32_fp8_fp8 v[12:15], a[58:59], a[2:3], v[12:15]// 0000000047C4: D3F3000C 1C32053A
	buffer_load_dwordx4 a[84:87], v48, s[84:87], 0 offen offset:1024// 0000000047CC: E05C1400 80955430
	v_mfma_f32_16x16x32_fp8_fp8 v[12:15], a[60:61], a[4:5], v[12:15]// 0000000047D4: D3F3000C 1C32093C
	v_mfma_f32_16x16x32_fp8_fp8 v[12:15], a[62:63], a[6:7], v[12:15]// 0000000047DC: D3F3000C 1C320D3E
	ds_read_b128 a[32:35], v2 offset:13056                     // 0000000047E4: DBFE3300 20000002
	ds_read_b128 a[36:39], v2 offset:13120                     // 0000000047EC: DBFE3340 24000002
	v_fma_f32 v76, v8, v4, v76                                 // 0000000047F4: D1CB004C 05320908
	v_fma_f32 v77, v9, v4, v77                                 // 0000000047FC: D1CB004D 05360909
	v_fma_f32 v78, v10, v4, v78                                // 000000004804: D1CB004E 053A090A
	v_fma_f32 v79, v11, v4, v79                                // 00000000480C: D1CB004F 053E090B
	v_mul_f32_dpp v6, v28, v37 row_newbcast:0 row_mask:0xf bank_mask:0xf// 000000004814: 0A0C4AFA FF01501C
	v_mfma_f32_16x16x32_fp8_fp8 v[8:11], a[48:49], a[8:9], 0   // 00000000481C: D3F30008 1A021130
	v_mfma_f32_16x16x32_fp8_fp8 v[8:11], a[50:51], a[10:11], v[8:11]// 000000004824: D3F30008 1C221532
	buffer_load_dwordx4 a[88:91], v49, s[84:87], 0 offen       // 00000000482C: E05C1000 80955831
	v_mfma_f32_16x16x32_fp8_fp8 v[8:11], a[52:53], a[12:13], v[8:11]// 000000004834: D3F30008 1C221934
	v_mfma_f32_16x16x32_fp8_fp8 v[8:11], a[54:55], a[14:15], v[8:11]// 00000000483C: D3F30008 1C221D36
	ds_read_b128 a[40:43], v2 offset:13568                     // 000000004844: DBFE3500 28000002
	ds_read_b128 a[44:47], v2 offset:13632                     // 00000000484C: DBFE3540 2C000002
	v_fma_f32 v88, v12, v4, v88                                // 000000004854: D1CB0058 0562090C
	v_fma_f32 v89, v13, v4, v89                                // 00000000485C: D1CB0059 0566090D
	v_fma_f32 v90, v14, v4, v90                                // 000000004864: D1CB005A 056A090E
	v_fma_f32 v91, v15, v4, v91                                // 00000000486C: D1CB005B 056E090F
	v_mfma_f32_16x16x32_fp8_fp8 v[12:15], a[56:57], a[8:9], 0  // 000000004874: D3F3000C 1A021138
	v_mfma_f32_16x16x32_fp8_fp8 v[12:15], a[58:59], a[10:11], v[12:15]// 00000000487C: D3F3000C 1C32153A
	buffer_load_dwordx4 a[92:95], v49, s[84:87], 0 offen offset:1024// 000000004884: E05C1400 80955C31
	v_mfma_f32_16x16x32_fp8_fp8 v[12:15], a[60:61], a[12:13], v[12:15]// 00000000488C: D3F3000C 1C32193C
	v_mfma_f32_16x16x32_fp8_fp8 v[12:15], a[62:63], a[14:15], v[12:15]// 000000004894: D3F3000C 1C321D3E
	v_fma_f32 v80, v8, v6, v80                                 // 00000000489C: D1CB0050 05420D08
	v_fma_f32 v81, v9, v6, v81                                 // 0000000048A4: D1CB0051 05460D09
	v_fma_f32 v82, v10, v6, v82                                // 0000000048AC: D1CB0052 054A0D0A
	v_fma_f32 v83, v11, v6, v83                                // 0000000048B4: D1CB0053 054E0D0B
	v_mul_f32_dpp v4, v28, v38 row_newbcast:0 row_mask:0xf bank_mask:0xf// 0000000048BC: 0A084CFA FF01501C
	v_mfma_f32_16x16x32_fp8_fp8 v[8:11], a[48:49], a[16:17], 0 // 0000000048C4: D3F30008 1A022130
	s_add_u32 s60, 0x180, s80                                  // 0000000048CC: 803C50FF 00000180
	s_cmp_lt_u32 s60, s81                                      // 0000000048D4: BF0A513C
	s_cselect_b32 s57, s57, 0                                  // 0000000048D8: 85398039
	s_cselect_b32 s3, s3, 0                                    // 0000000048DC: 85038003
	v_mfma_f32_16x16x32_fp8_fp8 v[8:11], a[50:51], a[18:19], v[8:11]// 0000000048E0: D3F30008 1C222532
	s_add_u32 s60, 0x100, s80                                  // 0000000048E8: 803C50FF 00000100
	s_cmp_lt_u32 s60, s81                                      // 0000000048F0: BF0A513C
	s_cselect_b32 s58, s58, 0                                  // 0000000048F4: 853A803A
	v_mfma_f32_16x16x32_fp8_fp8 v[8:11], a[52:53], a[20:21], v[8:11]// 0000000048F8: D3F30008 1C222934
	s_add_u32 s60, 0x100, s80                                  // 000000004900: 803C50FF 00000100
	s_cmp_lt_u32 s60, s81                                      // 000000004908: BF0A513C
	s_cselect_b32 s83, s83, 0                                  // 00000000490C: 85538053
	s_cselect_b32 s4, s4, 0                                    // 000000004910: 85048004
	v_mfma_f32_16x16x32_fp8_fp8 v[8:11], a[54:55], a[22:23], v[8:11]// 000000004914: D3F30008 1C222D36
	s_add_u32 s24, s58, s24                                    // 00000000491C: 8018183A
	s_addc_u32 s25, 0, s25                                     // 000000004920: 82191980
	v_fma_f32 v92, v12, v6, v92                                // 000000004924: D1CB005C 05720D0C
	v_fma_f32 v93, v13, v6, v93                                // 00000000492C: D1CB005D 05760D0D
	v_fma_f32 v94, v14, v6, v94                                // 000000004934: D1CB005E 057A0D0E
	v_fma_f32 v95, v15, v6, v95                                // 00000000493C: D1CB005F 057E0D0F
	v_mfma_f32_16x16x32_fp8_fp8 v[12:15], a[56:57], a[16:17], 0// 000000004944: D3F3000C 1A022138
	s_add_u32 s20, s57, s20                                    // 00000000494C: 80141439
	s_addc_u32 s21, 0, s21                                     // 000000004950: 82151580
	s_add_u32 s28, s3, s28                                     // 000000004954: 801C1C03
	s_addc_u32 s29, 0, s29                                     // 000000004958: 821D1D80
	v_mfma_f32_16x16x32_fp8_fp8 v[12:15], a[58:59], a[18:19], v[12:15]// 00000000495C: D3F3000C 1C32253A
	s_add_u32 s84, s83, s84                                    // 000000004964: 80545453
	s_addc_u32 s85, 0, s85                                     // 000000004968: 82555580
	v_mfma_f32_16x16x32_fp8_fp8 v[12:15], a[60:61], a[20:21], v[12:15]// 00000000496C: D3F3000C 1C32293C
	s_add_u32 s32, s4, s32                                     // 000000004974: 80202004
	s_addc_u32 s33, 0, s33                                     // 000000004978: 82212180
	v_mfma_f32_16x16x32_fp8_fp8 v[12:15], a[62:63], a[22:23], v[12:15]// 00000000497C: D3F3000C 1C322D3E
	v_fma_f32 v84, v8, v4, v84                                 // 000000004984: D1CB0054 05520908
	v_fma_f32 v85, v9, v4, v85                                 // 00000000498C: D1CB0055 05560909
	v_fma_f32 v86, v10, v4, v86                                // 000000004994: D1CB0056 055A090A
	v_fma_f32 v87, v11, v4, v87                                // 00000000499C: D1CB0057 055E090B
	v_fma_f32 v96, v12, v4, v96                                // 0000000049A4: D1CB0060 0582090C
	v_fma_f32 v97, v13, v4, v97                                // 0000000049AC: D1CB0061 0586090D
	v_fma_f32 v98, v14, v4, v98                                // 0000000049B4: D1CB0062 058A090E
	v_fma_f32 v99, v15, v4, v99                                // 0000000049BC: D1CB0063 058E090F
	s_addk_i32 s80, 0x80                                       // 0000000049C4: B7500080
	s_cmp_lt_i32 s80, s81                                      // 0000000049C8: BF045150
	s_cbranch_scc0 label_091C                                  // 0000000049CC: BF840128
	s_waitcnt vmcnt(14) lgkmcnt(0)                             // 0000000049D0: BF8C007E
	v_mul_f32_dpp v4, v26, v39 row_newbcast:0 row_mask:0xf bank_mask:0xf// 0000000049D4: 0A084EFA FF01501A
	v_mfma_f32_16x16x32_fp8_fp8 v[8:11], a[64:65], a[24:25], 0 // 0000000049DC: D3F30008 1A023140
	buffer_load_dword v24, v22, s[32:35], 0 offen              // 0000000049E4: E0501000 80081816
	v_mfma_f32_16x16x32_fp8_fp8 v[8:11], a[66:67], a[26:27], v[8:11]// 0000000049EC: D3F30008 1C223542
	buffer_load_dwordx4 a[48:51], v48, s[24:27], 0 offen       // 0000000049F4: E05C1000 80863030
	v_mfma_f32_16x16x32_fp8_fp8 v[8:11], a[68:69], a[28:29], v[8:11]// 0000000049FC: D3F30008 1C223944
	v_mfma_f32_16x16x32_fp8_fp8 v[8:11], a[70:71], a[30:31], v[8:11]// 000000004A04: D3F30008 1C223D46
	v_mfma_f32_16x16x32_fp8_fp8 v[12:15], a[72:73], a[24:25], 0// 000000004A0C: D3F3000C 1A023148
	v_mfma_f32_16x16x32_fp8_fp8 v[12:15], a[74:75], a[26:27], v[12:15]// 000000004A14: D3F3000C 1C32354A
	buffer_load_dwordx4 a[52:55], v48, s[24:27], 0 offen offset:1024// 000000004A1C: E05C1400 80863430
	v_mfma_f32_16x16x32_fp8_fp8 v[12:15], a[76:77], a[28:29], v[12:15]// 000000004A24: D3F3000C 1C32394C
	v_mfma_f32_16x16x32_fp8_fp8 v[12:15], a[78:79], a[30:31], v[12:15]// 000000004A2C: D3F3000C 1C323D4E
	v_fma_f32 v52, v8, v4, v52                                 // 000000004A34: D1CB0034 04D20908
	v_fma_f32 v53, v9, v4, v53                                 // 000000004A3C: D1CB0035 04D60909
	v_fma_f32 v54, v10, v4, v54                                // 000000004A44: D1CB0036 04DA090A
	v_fma_f32 v55, v11, v4, v55                                // 000000004A4C: D1CB0037 04DE090B
	v_mul_f32_dpp v6, v26, v40 row_newbcast:0 row_mask:0xf bank_mask:0xf// 000000004A54: 0A0C50FA FF01501A
	v_mfma_f32_16x16x32_fp8_fp8 v[8:11], a[64:65], a[32:33], 0 // 000000004A5C: D3F30008 1A024140
	v_mfma_f32_16x16x32_fp8_fp8 v[8:11], a[66:67], a[34:35], v[8:11]// 000000004A64: D3F30008 1C224542
	buffer_load_dwordx4 a[56:59], v49, s[24:27], 0 offen       // 000000004A6C: E05C1000 80863831
	v_mfma_f32_16x16x32_fp8_fp8 v[8:11], a[68:69], a[36:37], v[8:11]// 000000004A74: D3F30008 1C224944
	v_mfma_f32_16x16x32_fp8_fp8 v[8:11], a[70:71], a[38:39], v[8:11]// 000000004A7C: D3F30008 1C224D46
	v_fma_f32 v64, v12, v4, v64                                // 000000004A84: D1CB0040 0502090C
	v_fma_f32 v65, v13, v4, v65                                // 000000004A8C: D1CB0041 0506090D
	v_fma_f32 v66, v14, v4, v66                                // 000000004A94: D1CB0042 050A090E
	v_fma_f32 v67, v15, v4, v67                                // 000000004A9C: D1CB0043 050E090F
	v_mfma_f32_16x16x32_fp8_fp8 v[12:15], a[72:73], a[32:33], 0// 000000004AA4: D3F3000C 1A024148
	v_mfma_f32_16x16x32_fp8_fp8 v[12:15], a[74:75], a[34:35], v[12:15]// 000000004AAC: D3F3000C 1C32454A
	buffer_load_dwordx4 a[60:63], v49, s[24:27], 0 offen offset:1024// 000000004AB4: E05C1400 80863C31
	buffer_load_dword v42, s[20:23], 0 offen lds               // 000000004ABC: E0511000 8005002A
	s_add_u32 m0, 0x100, s49                                   // 000000004AC4: 807C31FF 00000100
	v_mfma_f32_16x16x32_fp8_fp8 v[12:15], a[76:77], a[36:37], v[12:15]// 000000004ACC: D3F3000C 1C32494C
	v_mfma_f32_16x16x32_fp8_fp8 v[12:15], a[78:79], a[38:39], v[12:15]// 000000004AD4: D3F3000C 1C324D4E
	buffer_load_dword v43, s[20:23], 0 offen lds               // 000000004ADC: E0511000 8005002B
	s_add_u32 m0, 0x200, s49                                   // 000000004AE4: 807C31FF 00000200
	v_fma_f32 v56, v8, v6, v56                                 // 000000004AEC: D1CB0038 04E20D08
	v_fma_f32 v57, v9, v6, v57                                 // 000000004AF4: D1CB0039 04E60D09
	v_fma_f32 v58, v10, v6, v58                                // 000000004AFC: D1CB003A 04EA0D0A
	v_fma_f32 v59, v11, v6, v59                                // 000000004B04: D1CB003B 04EE0D0B
	v_mul_f32_dpp v4, v26, v41 row_newbcast:0 row_mask:0xf bank_mask:0xf// 000000004B0C: 0A0852FA FF01501A
	v_mfma_f32_16x16x32_fp8_fp8 v[8:11], a[64:65], a[40:41], 0 // 000000004B14: D3F30008 1A025140
	v_mfma_f32_16x16x32_fp8_fp8 v[8:11], a[66:67], a[42:43], v[8:11]// 000000004B1C: D3F30008 1C225542
	buffer_load_dword v44, s[20:23], 0 offen lds               // 000000004B24: E0511000 8005002C
	s_add_u32 m0, 0x300, s49                                   // 000000004B2C: 807C31FF 00000300
	v_mfma_f32_16x16x32_fp8_fp8 v[8:11], a[68:69], a[44:45], v[8:11]// 000000004B34: D3F30008 1C225944
	v_mfma_f32_16x16x32_fp8_fp8 v[8:11], a[70:71], a[46:47], v[8:11]// 000000004B3C: D3F30008 1C225D46
	buffer_load_dword v45, s[20:23], 0 offen lds               // 000000004B44: E0511000 8005002D
	s_add_u32 m0, 0x400, s49                                   // 000000004B4C: 807C31FF 00000400
	v_fma_f32 v68, v12, v6, v68                                // 000000004B54: D1CB0044 05120D0C
	v_fma_f32 v69, v13, v6, v69                                // 000000004B5C: D1CB0045 05160D0D
	v_fma_f32 v70, v14, v6, v70                                // 000000004B64: D1CB0046 051A0D0E
	v_fma_f32 v71, v15, v6, v71                                // 000000004B6C: D1CB0047 051E0D0F
	v_mfma_f32_16x16x32_fp8_fp8 v[12:15], a[72:73], a[40:41], 0// 000000004B74: D3F3000C 1A025148
	v_mfma_f32_16x16x32_fp8_fp8 v[12:15], a[74:75], a[42:43], v[12:15]// 000000004B7C: D3F3000C 1C32554A
	buffer_load_dword v46, s[20:23], 0 offen lds               // 000000004B84: E0511000 8005002E
	s_add_u32 m0, 0x500, s49                                   // 000000004B8C: 807C31FF 00000500
	v_mfma_f32_16x16x32_fp8_fp8 v[12:15], a[76:77], a[44:45], v[12:15]// 000000004B94: D3F3000C 1C32594C
	v_mfma_f32_16x16x32_fp8_fp8 v[12:15], a[78:79], a[46:47], v[12:15]// 000000004B9C: D3F3000C 1C325D4E
	buffer_load_dword v47, s[20:23], 0 offen lds               // 000000004BA4: E0511000 8005002F
	s_add_u32 m0, 0, s50                                       // 000000004BAC: 807C3280
	v_fma_f32 v60, v8, v4, v60                                 // 000000004BB0: D1CB003C 04F20908
	v_fma_f32 v61, v9, v4, v61                                 // 000000004BB8: D1CB003D 04F60909
	v_fma_f32 v62, v10, v4, v62                                // 000000004BC0: D1CB003E 04FA090A
	v_fma_f32 v63, v11, v4, v63                                // 000000004BC8: D1CB003F 04FE090B
	v_fma_f32 v72, v12, v4, v72                                // 000000004BD0: D1CB0048 0522090C
	v_fma_f32 v73, v13, v4, v73                                // 000000004BD8: D1CB0049 0526090D
	v_fma_f32 v74, v14, v4, v74                                // 000000004BE0: D1CB004A 052A090E
	v_fma_f32 v75, v15, v4, v75                                // 000000004BE8: D1CB004B 052E090F
	buffer_load_dword v36, v30, s[28:31], 0 offen              // 000000004BF0: E0501000 8007241E
	buffer_load_dword v37, v31, s[28:31], 0 offen              // 000000004BF8: E0501000 8007251F
	buffer_load_dword v38, v32, s[28:31], 0 offen              // 000000004C00: E0501000 80072620
	s_waitcnt vmcnt(14)                                        // 000000004C08: BF8C0F7E
	s_barrier                                                  // 000000004C0C: BF8A0000
	v_mul_f32_dpp v4, v29, v39 row_newbcast:0 row_mask:0xf bank_mask:0xf// 000000004C10: 0A084EFA FF01501D
	v_mfma_f32_16x16x32_fp8_fp8 v[8:11], a[80:81], a[24:25], 0 // 000000004C18: D3F30008 1A023150
	buffer_load_dword v27, v23, s[32:35], 0 offen              // 000000004C20: E0501000 80081B17
	v_mfma_f32_16x16x32_fp8_fp8 v[8:11], a[82:83], a[26:27], v[8:11]// 000000004C28: D3F30008 1C223552
	buffer_load_dwordx4 a[64:67], v48, s[84:87], 0 offen       // 000000004C30: E05C1000 80954030
	v_mfma_f32_16x16x32_fp8_fp8 v[8:11], a[84:85], a[28:29], v[8:11]// 000000004C38: D3F30008 1C223954
	v_mfma_f32_16x16x32_fp8_fp8 v[8:11], a[86:87], a[30:31], v[8:11]// 000000004C40: D3F30008 1C223D56
	ds_read_b128 a[0:3], v2                                    // 000000004C48: DBFE0000 00000002
	ds_read_b128 a[4:7], v2 offset:64                          // 000000004C50: DBFE0040 04000002
	v_mfma_f32_16x16x32_fp8_fp8 v[12:15], a[88:89], a[24:25], 0// 000000004C58: D3F3000C 1A023158
	v_mfma_f32_16x16x32_fp8_fp8 v[12:15], a[90:91], a[26:27], v[12:15]// 000000004C60: D3F3000C 1C32355A
	buffer_load_dwordx4 a[68:71], v48, s[84:87], 0 offen offset:1024// 000000004C68: E05C1400 80954430
	v_mfma_f32_16x16x32_fp8_fp8 v[12:15], a[92:93], a[28:29], v[12:15]// 000000004C70: D3F3000C 1C32395C
	v_mfma_f32_16x16x32_fp8_fp8 v[12:15], a[94:95], a[30:31], v[12:15]// 000000004C78: D3F3000C 1C323D5E
	ds_read_b128 a[8:11], v2 offset:512                        // 000000004C80: DBFE0200 08000002
	ds_read_b128 a[12:15], v2 offset:576                       // 000000004C88: DBFE0240 0C000002
	v_fma_f32 v76, v8, v4, v76                                 // 000000004C90: D1CB004C 05320908
	v_fma_f32 v77, v9, v4, v77                                 // 000000004C98: D1CB004D 05360909
	v_fma_f32 v78, v10, v4, v78                                // 000000004CA0: D1CB004E 053A090A
	v_fma_f32 v79, v11, v4, v79                                // 000000004CA8: D1CB004F 053E090B
	v_mul_f32_dpp v6, v29, v40 row_newbcast:0 row_mask:0xf bank_mask:0xf// 000000004CB0: 0A0C50FA FF01501D
	v_mfma_f32_16x16x32_fp8_fp8 v[8:11], a[80:81], a[32:33], 0 // 000000004CB8: D3F30008 1A024150
	v_mfma_f32_16x16x32_fp8_fp8 v[8:11], a[82:83], a[34:35], v[8:11]// 000000004CC0: D3F30008 1C224552
	buffer_load_dwordx4 a[72:75], v49, s[84:87], 0 offen       // 000000004CC8: E05C1000 80954831
	v_mfma_f32_16x16x32_fp8_fp8 v[8:11], a[84:85], a[36:37], v[8:11]// 000000004CD0: D3F30008 1C224954
	v_mfma_f32_16x16x32_fp8_fp8 v[8:11], a[86:87], a[38:39], v[8:11]// 000000004CD8: D3F30008 1C224D56
	ds_read_b128 a[16:19], v2 offset:1024                      // 000000004CE0: DBFE0400 10000002
	ds_read_b128 a[20:23], v2 offset:1088                      // 000000004CE8: DBFE0440 14000002
	v_fma_f32 v88, v12, v4, v88                                // 000000004CF0: D1CB0058 0562090C
	v_fma_f32 v89, v13, v4, v89                                // 000000004CF8: D1CB0059 0566090D
	v_fma_f32 v90, v14, v4, v90                                // 000000004D00: D1CB005A 056A090E
	v_fma_f32 v91, v15, v4, v91                                // 000000004D08: D1CB005B 056E090F
	v_mfma_f32_16x16x32_fp8_fp8 v[12:15], a[88:89], a[32:33], 0// 000000004D10: D3F3000C 1A024158
	v_mfma_f32_16x16x32_fp8_fp8 v[12:15], a[90:91], a[34:35], v[12:15]// 000000004D18: D3F3000C 1C32455A
	buffer_load_dwordx4 a[76:79], v49, s[84:87], 0 offen offset:1024// 000000004D20: E05C1400 80954C31
	v_mfma_f32_16x16x32_fp8_fp8 v[12:15], a[92:93], a[36:37], v[12:15]// 000000004D28: D3F3000C 1C32495C
	v_mfma_f32_16x16x32_fp8_fp8 v[12:15], a[94:95], a[38:39], v[12:15]// 000000004D30: D3F3000C 1C324D5E
	v_fma_f32 v80, v8, v6, v80                                 // 000000004D38: D1CB0050 05420D08
	v_fma_f32 v81, v9, v6, v81                                 // 000000004D40: D1CB0051 05460D09
	v_fma_f32 v82, v10, v6, v82                                // 000000004D48: D1CB0052 054A0D0A
	v_fma_f32 v83, v11, v6, v83                                // 000000004D50: D1CB0053 054E0D0B
	v_mul_f32_dpp v4, v29, v41 row_newbcast:0 row_mask:0xf bank_mask:0xf// 000000004D58: 0A0852FA FF01501D
	v_mfma_f32_16x16x32_fp8_fp8 v[8:11], a[80:81], a[40:41], 0 // 000000004D60: D3F30008 1A025150
	s_add_u32 s60, 0x180, s80                                  // 000000004D68: 803C50FF 00000180
	s_cmp_lt_u32 s60, s81                                      // 000000004D70: BF0A513C
	s_cselect_b32 s57, s57, 0                                  // 000000004D74: 85398039
	s_cselect_b32 s3, s3, 0                                    // 000000004D78: 85038003
	v_mfma_f32_16x16x32_fp8_fp8 v[8:11], a[82:83], a[42:43], v[8:11]// 000000004D7C: D3F30008 1C225552
	s_add_u32 s60, 0x100, s80                                  // 000000004D84: 803C50FF 00000100
	s_cmp_lt_u32 s60, s81                                      // 000000004D8C: BF0A513C
	s_cselect_b32 s58, s58, 0                                  // 000000004D90: 853A803A
	v_mfma_f32_16x16x32_fp8_fp8 v[8:11], a[84:85], a[44:45], v[8:11]// 000000004D94: D3F30008 1C225954
	s_add_u32 s60, 0x100, s80                                  // 000000004D9C: 803C50FF 00000100
	s_cmp_lt_u32 s60, s81                                      // 000000004DA4: BF0A513C
	s_cselect_b32 s83, s83, 0                                  // 000000004DA8: 85538053
	s_cselect_b32 s4, s4, 0                                    // 000000004DAC: 85048004
	v_mfma_f32_16x16x32_fp8_fp8 v[8:11], a[86:87], a[46:47], v[8:11]// 000000004DB0: D3F30008 1C225D56
	s_add_u32 s24, s58, s24                                    // 000000004DB8: 8018183A
	s_addc_u32 s25, 0, s25                                     // 000000004DBC: 82191980
	v_fma_f32 v92, v12, v6, v92                                // 000000004DC0: D1CB005C 05720D0C
	v_fma_f32 v93, v13, v6, v93                                // 000000004DC8: D1CB005D 05760D0D
	v_fma_f32 v94, v14, v6, v94                                // 000000004DD0: D1CB005E 057A0D0E
	v_fma_f32 v95, v15, v6, v95                                // 000000004DD8: D1CB005F 057E0D0F
	v_mfma_f32_16x16x32_fp8_fp8 v[12:15], a[88:89], a[40:41], 0// 000000004DE0: D3F3000C 1A025158
	s_add_u32 s20, s57, s20                                    // 000000004DE8: 80141439
	s_addc_u32 s21, 0, s21                                     // 000000004DEC: 82151580
	s_add_u32 s28, s3, s28                                     // 000000004DF0: 801C1C03
	s_addc_u32 s29, 0, s29                                     // 000000004DF4: 821D1D80
	v_mfma_f32_16x16x32_fp8_fp8 v[12:15], a[90:91], a[42:43], v[12:15]// 000000004DF8: D3F3000C 1C32555A
	s_add_u32 s84, s83, s84                                    // 000000004E00: 80545453
	s_addc_u32 s85, 0, s85                                     // 000000004E04: 82555580
	v_mfma_f32_16x16x32_fp8_fp8 v[12:15], a[92:93], a[44:45], v[12:15]// 000000004E08: D3F3000C 1C32595C
	s_add_u32 s32, s4, s32                                     // 000000004E10: 80202004
	s_addc_u32 s33, 0, s33                                     // 000000004E14: 82212180
	v_mfma_f32_16x16x32_fp8_fp8 v[12:15], a[94:95], a[46:47], v[12:15]// 000000004E18: D3F3000C 1C325D5E
	v_fma_f32 v84, v8, v4, v84                                 // 000000004E20: D1CB0054 05520908
	v_fma_f32 v85, v9, v4, v85                                 // 000000004E28: D1CB0055 05560909
	v_fma_f32 v86, v10, v4, v86                                // 000000004E30: D1CB0056 055A090A
	v_fma_f32 v87, v11, v4, v87                                // 000000004E38: D1CB0057 055E090B
	v_fma_f32 v96, v12, v4, v96                                // 000000004E40: D1CB0060 0582090C
	v_fma_f32 v97, v13, v4, v97                                // 000000004E48: D1CB0061 0586090D
	v_fma_f32 v98, v14, v4, v98                                // 000000004E50: D1CB0062 058A090E
	v_fma_f32 v99, v15, v4, v99                                // 000000004E58: D1CB0063 058E090F
	s_addk_i32 s80, 0x80                                       // 000000004E60: B7500080
	s_cmp_lt_i32 s80, s81                                      // 000000004E64: BF045150
	s_cbranch_scc0 label_091C                                  // 000000004E68: BF840001
	s_branch label_0231                                        // 000000004E6C: BF82F915

0000000000004e70 <label_091C>:
	s_cmp_eq_u32 s88, 0                                        // 000000004E70: BF068058
	s_cbranch_scc0 label_0D50                                  // 000000004E74: BF840432
	s_cmp_eq_u32 s89, 0                                        // 000000004E78: BF068059
	s_cbranch_scc1 label_0A15                                  // 000000004E7C: BF8500F5
	v_mov_b32_e32 v8, v1                                       // 000000004E80: 7E100301
	v_mov_b32_e32 v9, v1                                       // 000000004E84: 7E120301
	s_mov_b32 s60, s6                                          // 000000004E88: BEBC0006
	s_mov_b32 s61, s6                                          // 000000004E8C: BEBD0006
	v_pk_mul_f32 v[4:5], v[52:53], v[52:53]                    // 000000004E90: D3B14004 18026934
	v_pk_mul_f32 v[6:7], v[54:55], v[54:55]                    // 000000004E98: D3B14006 18026D36
	v_pk_fma_f32 v[4:5], v[4:5], s[78:79], v[8:9]              // 000000004EA0: D3B04004 1C209D04
	v_pk_fma_f32 v[6:7], v[6:7], s[78:79], v[8:9]              // 000000004EA8: D3B04006 1C209D06
	v_pk_mul_f32 v[4:5], v[4:5], v[52:53]                      // 000000004EB0: D3B14004 18026904
	v_pk_mul_f32 v[6:7], v[6:7], v[54:55]                      // 000000004EB8: D3B14006 18026D06
	v_pk_mul_f32 v[4:5], v[4:5], s[60:61]                      // 000000004EC0: D3B14004 18007904
	v_pk_mul_f32 v[6:7], v[6:7], s[60:61]                      // 000000004EC8: D3B14006 18007906
	v_exp_f32_e32 v4, v4                                       // 000000004ED0: 7E084104
	v_exp_f32_e32 v5, v5                                       // 000000004ED4: 7E0A4105
	v_exp_f32_e32 v6, v6                                       // 000000004ED8: 7E0C4106
	v_exp_f32_e32 v7, v7                                       // 000000004EDC: 7E0E4107
	v_add_f32_e64 v4, v4, 1.0                                  // 000000004EE0: D1010004 0001E504
	v_add_f32_e64 v5, v5, 1.0                                  // 000000004EE8: D1010005 0001E505
	v_add_f32_e64 v6, v6, 1.0                                  // 000000004EF0: D1010006 0001E506
	v_add_f32_e64 v7, v7, 1.0                                  // 000000004EF8: D1010007 0001E507
	v_rcp_f32_e32 v4, v4                                       // 000000004F00: 7E084504
	v_rcp_f32_e32 v5, v5                                       // 000000004F04: 7E0A4505
	v_rcp_f32_e32 v6, v6                                       // 000000004F08: 7E0C4506
	v_rcp_f32_e32 v7, v7                                       // 000000004F0C: 7E0E4507
	v_mul_f32_e32 v52, v52, v4                                 // 000000004F10: 0A680934
	v_mul_f32_e32 v53, v53, v5                                 // 000000004F14: 0A6A0B35
	v_mul_f32_e32 v54, v54, v6                                 // 000000004F18: 0A6C0D36
	v_mul_f32_e32 v55, v55, v7                                 // 000000004F1C: 0A6E0F37
	v_mul_f32_e32 v52, v52, v76                                // 000000004F20: 0A689934
	v_mul_f32_e32 v53, v53, v77                                // 000000004F24: 0A6A9B35
	v_mul_f32_e32 v54, v54, v78                                // 000000004F28: 0A6C9D36
	v_mul_f32_e32 v55, v55, v79                                // 000000004F2C: 0A6E9F37
	v_pk_mul_f32 v[4:5], v[56:57], v[56:57]                    // 000000004F30: D3B14004 18027138
	v_pk_mul_f32 v[6:7], v[58:59], v[58:59]                    // 000000004F38: D3B14006 1802753A
	v_pk_fma_f32 v[4:5], v[4:5], s[78:79], v[8:9]              // 000000004F40: D3B04004 1C209D04
	v_pk_fma_f32 v[6:7], v[6:7], s[78:79], v[8:9]              // 000000004F48: D3B04006 1C209D06
	v_pk_mul_f32 v[4:5], v[4:5], v[56:57]                      // 000000004F50: D3B14004 18027104
	v_pk_mul_f32 v[6:7], v[6:7], v[58:59]                      // 000000004F58: D3B14006 18027506
	v_pk_mul_f32 v[4:5], v[4:5], s[60:61]                      // 000000004F60: D3B14004 18007904
	v_pk_mul_f32 v[6:7], v[6:7], s[60:61]                      // 000000004F68: D3B14006 18007906
	v_exp_f32_e32 v4, v4                                       // 000000004F70: 7E084104
	v_exp_f32_e32 v5, v5                                       // 000000004F74: 7E0A4105
	v_exp_f32_e32 v6, v6                                       // 000000004F78: 7E0C4106
	v_exp_f32_e32 v7, v7                                       // 000000004F7C: 7E0E4107
	v_add_f32_e64 v4, v4, 1.0                                  // 000000004F80: D1010004 0001E504
	v_add_f32_e64 v5, v5, 1.0                                  // 000000004F88: D1010005 0001E505
	v_add_f32_e64 v6, v6, 1.0                                  // 000000004F90: D1010006 0001E506
	v_add_f32_e64 v7, v7, 1.0                                  // 000000004F98: D1010007 0001E507
	v_rcp_f32_e32 v4, v4                                       // 000000004FA0: 7E084504
	v_rcp_f32_e32 v5, v5                                       // 000000004FA4: 7E0A4505
	v_rcp_f32_e32 v6, v6                                       // 000000004FA8: 7E0C4506
	v_rcp_f32_e32 v7, v7                                       // 000000004FAC: 7E0E4507
	v_mul_f32_e32 v56, v56, v4                                 // 000000004FB0: 0A700938
	v_mul_f32_e32 v57, v57, v5                                 // 000000004FB4: 0A720B39
	v_mul_f32_e32 v58, v58, v6                                 // 000000004FB8: 0A740D3A
	v_mul_f32_e32 v59, v59, v7                                 // 000000004FBC: 0A760F3B
	v_mul_f32_e32 v56, v56, v80                                // 000000004FC0: 0A70A138
	v_mul_f32_e32 v57, v57, v81                                // 000000004FC4: 0A72A339
	v_mul_f32_e32 v58, v58, v82                                // 000000004FC8: 0A74A53A
	v_mul_f32_e32 v59, v59, v83                                // 000000004FCC: 0A76A73B
	v_pk_mul_f32 v[4:5], v[60:61], v[60:61]                    // 000000004FD0: D3B14004 1802793C
	v_pk_mul_f32 v[6:7], v[62:63], v[62:63]                    // 000000004FD8: D3B14006 18027D3E
	v_pk_fma_f32 v[4:5], v[4:5], s[78:79], v[8:9]              // 000000004FE0: D3B04004 1C209D04
	v_pk_fma_f32 v[6:7], v[6:7], s[78:79], v[8:9]              // 000000004FE8: D3B04006 1C209D06
	v_pk_mul_f32 v[4:5], v[4:5], v[60:61]                      // 000000004FF0: D3B14004 18027904
	v_pk_mul_f32 v[6:7], v[6:7], v[62:63]                      // 000000004FF8: D3B14006 18027D06
	v_pk_mul_f32 v[4:5], v[4:5], s[60:61]                      // 000000005000: D3B14004 18007904
	v_pk_mul_f32 v[6:7], v[6:7], s[60:61]                      // 000000005008: D3B14006 18007906
	v_exp_f32_e32 v4, v4                                       // 000000005010: 7E084104
	v_exp_f32_e32 v5, v5                                       // 000000005014: 7E0A4105
	v_exp_f32_e32 v6, v6                                       // 000000005018: 7E0C4106
	v_exp_f32_e32 v7, v7                                       // 00000000501C: 7E0E4107
	v_add_f32_e64 v4, v4, 1.0                                  // 000000005020: D1010004 0001E504
	v_add_f32_e64 v5, v5, 1.0                                  // 000000005028: D1010005 0001E505
	v_add_f32_e64 v6, v6, 1.0                                  // 000000005030: D1010006 0001E506
	v_add_f32_e64 v7, v7, 1.0                                  // 000000005038: D1010007 0001E507
	v_rcp_f32_e32 v4, v4                                       // 000000005040: 7E084504
	v_rcp_f32_e32 v5, v5                                       // 000000005044: 7E0A4505
	v_rcp_f32_e32 v6, v6                                       // 000000005048: 7E0C4506
	v_rcp_f32_e32 v7, v7                                       // 00000000504C: 7E0E4507
	v_mul_f32_e32 v60, v60, v4                                 // 000000005050: 0A78093C
	v_mul_f32_e32 v61, v61, v5                                 // 000000005054: 0A7A0B3D
	v_mul_f32_e32 v62, v62, v6                                 // 000000005058: 0A7C0D3E
	v_mul_f32_e32 v63, v63, v7                                 // 00000000505C: 0A7E0F3F
	v_mul_f32_e32 v60, v60, v84                                // 000000005060: 0A78A93C
	v_mul_f32_e32 v61, v61, v85                                // 000000005064: 0A7AAB3D
	v_mul_f32_e32 v62, v62, v86                                // 000000005068: 0A7CAD3E
	v_mul_f32_e32 v63, v63, v87                                // 00000000506C: 0A7EAF3F
	v_pk_mul_f32 v[4:5], v[64:65], v[64:65]                    // 000000005070: D3B14004 18028140
	v_pk_mul_f32 v[6:7], v[66:67], v[66:67]                    // 000000005078: D3B14006 18028542
	v_pk_fma_f32 v[4:5], v[4:5], s[78:79], v[8:9]              // 000000005080: D3B04004 1C209D04
	v_pk_fma_f32 v[6:7], v[6:7], s[78:79], v[8:9]              // 000000005088: D3B04006 1C209D06
	v_pk_mul_f32 v[4:5], v[4:5], v[64:65]                      // 000000005090: D3B14004 18028104
	v_pk_mul_f32 v[6:7], v[6:7], v[66:67]                      // 000000005098: D3B14006 18028506
	v_pk_mul_f32 v[4:5], v[4:5], s[60:61]                      // 0000000050A0: D3B14004 18007904
	v_pk_mul_f32 v[6:7], v[6:7], s[60:61]                      // 0000000050A8: D3B14006 18007906
	v_exp_f32_e32 v4, v4                                       // 0000000050B0: 7E084104
	v_exp_f32_e32 v5, v5                                       // 0000000050B4: 7E0A4105
	v_exp_f32_e32 v6, v6                                       // 0000000050B8: 7E0C4106
	v_exp_f32_e32 v7, v7                                       // 0000000050BC: 7E0E4107
	v_add_f32_e64 v4, v4, 1.0                                  // 0000000050C0: D1010004 0001E504
	v_add_f32_e64 v5, v5, 1.0                                  // 0000000050C8: D1010005 0001E505
	v_add_f32_e64 v6, v6, 1.0                                  // 0000000050D0: D1010006 0001E506
	v_add_f32_e64 v7, v7, 1.0                                  // 0000000050D8: D1010007 0001E507
	v_rcp_f32_e32 v4, v4                                       // 0000000050E0: 7E084504
	v_rcp_f32_e32 v5, v5                                       // 0000000050E4: 7E0A4505
	v_rcp_f32_e32 v6, v6                                       // 0000000050E8: 7E0C4506
	v_rcp_f32_e32 v7, v7                                       // 0000000050EC: 7E0E4507
	v_mul_f32_e32 v64, v64, v4                                 // 0000000050F0: 0A800940
	v_mul_f32_e32 v65, v65, v5                                 // 0000000050F4: 0A820B41
	v_mul_f32_e32 v66, v66, v6                                 // 0000000050F8: 0A840D42
	v_mul_f32_e32 v67, v67, v7                                 // 0000000050FC: 0A860F43
	v_mul_f32_e32 v64, v64, v88                                // 000000005100: 0A80B140
	v_mul_f32_e32 v65, v65, v89                                // 000000005104: 0A82B341
	v_mul_f32_e32 v66, v66, v90                                // 000000005108: 0A84B542
	v_mul_f32_e32 v67, v67, v91                                // 00000000510C: 0A86B743
	v_pk_mul_f32 v[4:5], v[68:69], v[68:69]                    // 000000005110: D3B14004 18028944
	v_pk_mul_f32 v[6:7], v[70:71], v[70:71]                    // 000000005118: D3B14006 18028D46
	v_pk_fma_f32 v[4:5], v[4:5], s[78:79], v[8:9]              // 000000005120: D3B04004 1C209D04
	v_pk_fma_f32 v[6:7], v[6:7], s[78:79], v[8:9]              // 000000005128: D3B04006 1C209D06
	v_pk_mul_f32 v[4:5], v[4:5], v[68:69]                      // 000000005130: D3B14004 18028904
	v_pk_mul_f32 v[6:7], v[6:7], v[70:71]                      // 000000005138: D3B14006 18028D06
	v_pk_mul_f32 v[4:5], v[4:5], s[60:61]                      // 000000005140: D3B14004 18007904
	v_pk_mul_f32 v[6:7], v[6:7], s[60:61]                      // 000000005148: D3B14006 18007906
	v_exp_f32_e32 v4, v4                                       // 000000005150: 7E084104
	v_exp_f32_e32 v5, v5                                       // 000000005154: 7E0A4105
	v_exp_f32_e32 v6, v6                                       // 000000005158: 7E0C4106
	v_exp_f32_e32 v7, v7                                       // 00000000515C: 7E0E4107
	v_add_f32_e64 v4, v4, 1.0                                  // 000000005160: D1010004 0001E504
	v_add_f32_e64 v5, v5, 1.0                                  // 000000005168: D1010005 0001E505
	v_add_f32_e64 v6, v6, 1.0                                  // 000000005170: D1010006 0001E506
	v_add_f32_e64 v7, v7, 1.0                                  // 000000005178: D1010007 0001E507
	v_rcp_f32_e32 v4, v4                                       // 000000005180: 7E084504
	v_rcp_f32_e32 v5, v5                                       // 000000005184: 7E0A4505
	v_rcp_f32_e32 v6, v6                                       // 000000005188: 7E0C4506
	v_rcp_f32_e32 v7, v7                                       // 00000000518C: 7E0E4507
	v_mul_f32_e32 v68, v68, v4                                 // 000000005190: 0A880944
	v_mul_f32_e32 v69, v69, v5                                 // 000000005194: 0A8A0B45
	v_mul_f32_e32 v70, v70, v6                                 // 000000005198: 0A8C0D46
	v_mul_f32_e32 v71, v71, v7                                 // 00000000519C: 0A8E0F47
	v_mul_f32_e32 v68, v68, v92                                // 0000000051A0: 0A88B944
	v_mul_f32_e32 v69, v69, v93                                // 0000000051A4: 0A8ABB45
	v_mul_f32_e32 v70, v70, v94                                // 0000000051A8: 0A8CBD46
	v_mul_f32_e32 v71, v71, v95                                // 0000000051AC: 0A8EBF47
	v_pk_mul_f32 v[4:5], v[72:73], v[72:73]                    // 0000000051B0: D3B14004 18029148
	v_pk_mul_f32 v[6:7], v[74:75], v[74:75]                    // 0000000051B8: D3B14006 1802954A
	v_pk_fma_f32 v[4:5], v[4:5], s[78:79], v[8:9]              // 0000000051C0: D3B04004 1C209D04
	v_pk_fma_f32 v[6:7], v[6:7], s[78:79], v[8:9]              // 0000000051C8: D3B04006 1C209D06
	v_pk_mul_f32 v[4:5], v[4:5], v[72:73]                      // 0000000051D0: D3B14004 18029104
	v_pk_mul_f32 v[6:7], v[6:7], v[74:75]                      // 0000000051D8: D3B14006 18029506
	v_pk_mul_f32 v[4:5], v[4:5], s[60:61]                      // 0000000051E0: D3B14004 18007904
	v_pk_mul_f32 v[6:7], v[6:7], s[60:61]                      // 0000000051E8: D3B14006 18007906
	v_exp_f32_e32 v4, v4                                       // 0000000051F0: 7E084104
	v_exp_f32_e32 v5, v5                                       // 0000000051F4: 7E0A4105
	v_exp_f32_e32 v6, v6                                       // 0000000051F8: 7E0C4106
	v_exp_f32_e32 v7, v7                                       // 0000000051FC: 7E0E4107
	v_add_f32_e64 v4, v4, 1.0                                  // 000000005200: D1010004 0001E504
	v_add_f32_e64 v5, v5, 1.0                                  // 000000005208: D1010005 0001E505
	v_add_f32_e64 v6, v6, 1.0                                  // 000000005210: D1010006 0001E506
	v_add_f32_e64 v7, v7, 1.0                                  // 000000005218: D1010007 0001E507
	v_rcp_f32_e32 v4, v4                                       // 000000005220: 7E084504
	v_rcp_f32_e32 v5, v5                                       // 000000005224: 7E0A4505
	v_rcp_f32_e32 v6, v6                                       // 000000005228: 7E0C4506
	v_rcp_f32_e32 v7, v7                                       // 00000000522C: 7E0E4507
	v_mul_f32_e32 v72, v72, v4                                 // 000000005230: 0A900948
	v_mul_f32_e32 v73, v73, v5                                 // 000000005234: 0A920B49
	v_mul_f32_e32 v74, v74, v6                                 // 000000005238: 0A940D4A
	v_mul_f32_e32 v75, v75, v7                                 // 00000000523C: 0A960F4B
	v_mul_f32_e32 v72, v72, v96                                // 000000005240: 0A90C148
	v_mul_f32_e32 v73, v73, v97                                // 000000005244: 0A92C349
	v_mul_f32_e32 v74, v74, v98                                // 000000005248: 0A94C54A
	v_mul_f32_e32 v75, v75, v99                                // 00000000524C: 0A96C74B
	s_branch label_0AD5                                        // 000000005250: BF8200C0

0000000000005254 <label_0A15>:
	v_mul_f32_e64 v4, -v52, s6                                 // 000000005254: D1050004 20000D34
	v_mul_f32_e64 v5, -v53, s6                                 // 00000000525C: D1050005 20000D35
	v_mul_f32_e64 v6, -v54, s6                                 // 000000005264: D1050006 20000D36
	v_mul_f32_e64 v7, -v55, s6                                 // 00000000526C: D1050007 20000D37
	v_exp_f32_e32 v4, v4                                       // 000000005274: 7E084104
	v_exp_f32_e32 v5, v5                                       // 000000005278: 7E0A4105
	v_exp_f32_e32 v6, v6                                       // 00000000527C: 7E0C4106
	v_exp_f32_e32 v7, v7                                       // 000000005280: 7E0E4107
	v_add_f32_e64 v4, v4, 1.0                                  // 000000005284: D1010004 0001E504
	v_add_f32_e64 v5, v5, 1.0                                  // 00000000528C: D1010005 0001E505
	v_add_f32_e64 v6, v6, 1.0                                  // 000000005294: D1010006 0001E506
	v_add_f32_e64 v7, v7, 1.0                                  // 00000000529C: D1010007 0001E507
	v_rcp_f32_e32 v4, v4                                       // 0000000052A4: 7E084504
	v_rcp_f32_e32 v5, v5                                       // 0000000052A8: 7E0A4505
	v_rcp_f32_e32 v6, v6                                       // 0000000052AC: 7E0C4506
	v_rcp_f32_e32 v7, v7                                       // 0000000052B0: 7E0E4507
	v_mul_f32_e32 v52, v52, v4                                 // 0000000052B4: 0A680934
	v_mul_f32_e32 v53, v53, v5                                 // 0000000052B8: 0A6A0B35
	v_mul_f32_e32 v54, v54, v6                                 // 0000000052BC: 0A6C0D36
	v_mul_f32_e32 v55, v55, v7                                 // 0000000052C0: 0A6E0F37
	v_mul_f32_e32 v52, v52, v76                                // 0000000052C4: 0A689934
	v_mul_f32_e32 v53, v53, v77                                // 0000000052C8: 0A6A9B35
	v_mul_f32_e32 v54, v54, v78                                // 0000000052CC: 0A6C9D36
	v_mul_f32_e32 v55, v55, v79                                // 0000000052D0: 0A6E9F37
	v_mul_f32_e64 v4, -v56, s6                                 // 0000000052D4: D1050004 20000D38
	v_mul_f32_e64 v5, -v57, s6                                 // 0000000052DC: D1050005 20000D39
	v_mul_f32_e64 v6, -v58, s6                                 // 0000000052E4: D1050006 20000D3A
	v_mul_f32_e64 v7, -v59, s6                                 // 0000000052EC: D1050007 20000D3B
	v_exp_f32_e32 v4, v4                                       // 0000000052F4: 7E084104
	v_exp_f32_e32 v5, v5                                       // 0000000052F8: 7E0A4105
	v_exp_f32_e32 v6, v6                                       // 0000000052FC: 7E0C4106
	v_exp_f32_e32 v7, v7                                       // 000000005300: 7E0E4107
	v_add_f32_e64 v4, v4, 1.0                                  // 000000005304: D1010004 0001E504
	v_add_f32_e64 v5, v5, 1.0                                  // 00000000530C: D1010005 0001E505
	v_add_f32_e64 v6, v6, 1.0                                  // 000000005314: D1010006 0001E506
	v_add_f32_e64 v7, v7, 1.0                                  // 00000000531C: D1010007 0001E507
	v_rcp_f32_e32 v4, v4                                       // 000000005324: 7E084504
	v_rcp_f32_e32 v5, v5                                       // 000000005328: 7E0A4505
	v_rcp_f32_e32 v6, v6                                       // 00000000532C: 7E0C4506
	v_rcp_f32_e32 v7, v7                                       // 000000005330: 7E0E4507
	v_mul_f32_e32 v56, v56, v4                                 // 000000005334: 0A700938
	v_mul_f32_e32 v57, v57, v5                                 // 000000005338: 0A720B39
	v_mul_f32_e32 v58, v58, v6                                 // 00000000533C: 0A740D3A
	v_mul_f32_e32 v59, v59, v7                                 // 000000005340: 0A760F3B
	v_mul_f32_e32 v56, v56, v80                                // 000000005344: 0A70A138
	v_mul_f32_e32 v57, v57, v81                                // 000000005348: 0A72A339
	v_mul_f32_e32 v58, v58, v82                                // 00000000534C: 0A74A53A
	v_mul_f32_e32 v59, v59, v83                                // 000000005350: 0A76A73B
	v_mul_f32_e64 v4, -v60, s6                                 // 000000005354: D1050004 20000D3C
	v_mul_f32_e64 v5, -v61, s6                                 // 00000000535C: D1050005 20000D3D
	v_mul_f32_e64 v6, -v62, s6                                 // 000000005364: D1050006 20000D3E
	v_mul_f32_e64 v7, -v63, s6                                 // 00000000536C: D1050007 20000D3F
	v_exp_f32_e32 v4, v4                                       // 000000005374: 7E084104
	v_exp_f32_e32 v5, v5                                       // 000000005378: 7E0A4105
	v_exp_f32_e32 v6, v6                                       // 00000000537C: 7E0C4106
	v_exp_f32_e32 v7, v7                                       // 000000005380: 7E0E4107
	v_add_f32_e64 v4, v4, 1.0                                  // 000000005384: D1010004 0001E504
	v_add_f32_e64 v5, v5, 1.0                                  // 00000000538C: D1010005 0001E505
	v_add_f32_e64 v6, v6, 1.0                                  // 000000005394: D1010006 0001E506
	v_add_f32_e64 v7, v7, 1.0                                  // 00000000539C: D1010007 0001E507
	v_rcp_f32_e32 v4, v4                                       // 0000000053A4: 7E084504
	v_rcp_f32_e32 v5, v5                                       // 0000000053A8: 7E0A4505
	v_rcp_f32_e32 v6, v6                                       // 0000000053AC: 7E0C4506
	v_rcp_f32_e32 v7, v7                                       // 0000000053B0: 7E0E4507
	v_mul_f32_e32 v60, v60, v4                                 // 0000000053B4: 0A78093C
	v_mul_f32_e32 v61, v61, v5                                 // 0000000053B8: 0A7A0B3D
	v_mul_f32_e32 v62, v62, v6                                 // 0000000053BC: 0A7C0D3E
	v_mul_f32_e32 v63, v63, v7                                 // 0000000053C0: 0A7E0F3F
	v_mul_f32_e32 v60, v60, v84                                // 0000000053C4: 0A78A93C
	v_mul_f32_e32 v61, v61, v85                                // 0000000053C8: 0A7AAB3D
	v_mul_f32_e32 v62, v62, v86                                // 0000000053CC: 0A7CAD3E
	v_mul_f32_e32 v63, v63, v87                                // 0000000053D0: 0A7EAF3F
	v_mul_f32_e64 v4, -v64, s6                                 // 0000000053D4: D1050004 20000D40
	v_mul_f32_e64 v5, -v65, s6                                 // 0000000053DC: D1050005 20000D41
	v_mul_f32_e64 v6, -v66, s6                                 // 0000000053E4: D1050006 20000D42
	v_mul_f32_e64 v7, -v67, s6                                 // 0000000053EC: D1050007 20000D43
	v_exp_f32_e32 v4, v4                                       // 0000000053F4: 7E084104
	v_exp_f32_e32 v5, v5                                       // 0000000053F8: 7E0A4105
	v_exp_f32_e32 v6, v6                                       // 0000000053FC: 7E0C4106
	v_exp_f32_e32 v7, v7                                       // 000000005400: 7E0E4107
	v_add_f32_e64 v4, v4, 1.0                                  // 000000005404: D1010004 0001E504
	v_add_f32_e64 v5, v5, 1.0                                  // 00000000540C: D1010005 0001E505
	v_add_f32_e64 v6, v6, 1.0                                  // 000000005414: D1010006 0001E506
	v_add_f32_e64 v7, v7, 1.0                                  // 00000000541C: D1010007 0001E507
	v_rcp_f32_e32 v4, v4                                       // 000000005424: 7E084504
	v_rcp_f32_e32 v5, v5                                       // 000000005428: 7E0A4505
	v_rcp_f32_e32 v6, v6                                       // 00000000542C: 7E0C4506
	v_rcp_f32_e32 v7, v7                                       // 000000005430: 7E0E4507
	v_mul_f32_e32 v64, v64, v4                                 // 000000005434: 0A800940
	v_mul_f32_e32 v65, v65, v5                                 // 000000005438: 0A820B41
	v_mul_f32_e32 v66, v66, v6                                 // 00000000543C: 0A840D42
	v_mul_f32_e32 v67, v67, v7                                 // 000000005440: 0A860F43
	v_mul_f32_e32 v64, v64, v88                                // 000000005444: 0A80B140
	v_mul_f32_e32 v65, v65, v89                                // 000000005448: 0A82B341
	v_mul_f32_e32 v66, v66, v90                                // 00000000544C: 0A84B542
	v_mul_f32_e32 v67, v67, v91                                // 000000005450: 0A86B743
	v_mul_f32_e64 v4, -v68, s6                                 // 000000005454: D1050004 20000D44
	v_mul_f32_e64 v5, -v69, s6                                 // 00000000545C: D1050005 20000D45
	v_mul_f32_e64 v6, -v70, s6                                 // 000000005464: D1050006 20000D46
	v_mul_f32_e64 v7, -v71, s6                                 // 00000000546C: D1050007 20000D47
	v_exp_f32_e32 v4, v4                                       // 000000005474: 7E084104
	v_exp_f32_e32 v5, v5                                       // 000000005478: 7E0A4105
	v_exp_f32_e32 v6, v6                                       // 00000000547C: 7E0C4106
	v_exp_f32_e32 v7, v7                                       // 000000005480: 7E0E4107
	v_add_f32_e64 v4, v4, 1.0                                  // 000000005484: D1010004 0001E504
	v_add_f32_e64 v5, v5, 1.0                                  // 00000000548C: D1010005 0001E505
	v_add_f32_e64 v6, v6, 1.0                                  // 000000005494: D1010006 0001E506
	v_add_f32_e64 v7, v7, 1.0                                  // 00000000549C: D1010007 0001E507
	v_rcp_f32_e32 v4, v4                                       // 0000000054A4: 7E084504
	v_rcp_f32_e32 v5, v5                                       // 0000000054A8: 7E0A4505
	v_rcp_f32_e32 v6, v6                                       // 0000000054AC: 7E0C4506
	v_rcp_f32_e32 v7, v7                                       // 0000000054B0: 7E0E4507
	v_mul_f32_e32 v68, v68, v4                                 // 0000000054B4: 0A880944
	v_mul_f32_e32 v69, v69, v5                                 // 0000000054B8: 0A8A0B45
	v_mul_f32_e32 v70, v70, v6                                 // 0000000054BC: 0A8C0D46
	v_mul_f32_e32 v71, v71, v7                                 // 0000000054C0: 0A8E0F47
	v_mul_f32_e32 v68, v68, v92                                // 0000000054C4: 0A88B944
	v_mul_f32_e32 v69, v69, v93                                // 0000000054C8: 0A8ABB45
	v_mul_f32_e32 v70, v70, v94                                // 0000000054CC: 0A8CBD46
	v_mul_f32_e32 v71, v71, v95                                // 0000000054D0: 0A8EBF47
	v_mul_f32_e64 v4, -v72, s6                                 // 0000000054D4: D1050004 20000D48
	v_mul_f32_e64 v5, -v73, s6                                 // 0000000054DC: D1050005 20000D49
	v_mul_f32_e64 v6, -v74, s6                                 // 0000000054E4: D1050006 20000D4A
	v_mul_f32_e64 v7, -v75, s6                                 // 0000000054EC: D1050007 20000D4B
	v_exp_f32_e32 v4, v4                                       // 0000000054F4: 7E084104
	v_exp_f32_e32 v5, v5                                       // 0000000054F8: 7E0A4105
	v_exp_f32_e32 v6, v6                                       // 0000000054FC: 7E0C4106
	v_exp_f32_e32 v7, v7                                       // 000000005500: 7E0E4107
	v_add_f32_e64 v4, v4, 1.0                                  // 000000005504: D1010004 0001E504
	v_add_f32_e64 v5, v5, 1.0                                  // 00000000550C: D1010005 0001E505
	v_add_f32_e64 v6, v6, 1.0                                  // 000000005514: D1010006 0001E506
	v_add_f32_e64 v7, v7, 1.0                                  // 00000000551C: D1010007 0001E507
	v_rcp_f32_e32 v4, v4                                       // 000000005524: 7E084504
	v_rcp_f32_e32 v5, v5                                       // 000000005528: 7E0A4505
	v_rcp_f32_e32 v6, v6                                       // 00000000552C: 7E0C4506
	v_rcp_f32_e32 v7, v7                                       // 000000005530: 7E0E4507
	v_mul_f32_e32 v72, v72, v4                                 // 000000005534: 0A900948
	v_mul_f32_e32 v73, v73, v5                                 // 000000005538: 0A920B49
	v_mul_f32_e32 v74, v74, v6                                 // 00000000553C: 0A940D4A
	v_mul_f32_e32 v75, v75, v7                                 // 000000005540: 0A960F4B
	v_mul_f32_e32 v72, v72, v96                                // 000000005544: 0A90C148
	v_mul_f32_e32 v73, v73, v97                                // 000000005548: 0A92C349
	v_mul_f32_e32 v74, v74, v98                                // 00000000554C: 0A94C54A
	v_mul_f32_e32 v75, v75, v99                                // 000000005550: 0A96C74B

0000000000005554 <label_0AD5>:
	s_cmp_eq_u32 s7, 0                                         // 000000005554: BF068007
	s_cbranch_scc0 label_0AE2                                  // 000000005558: BF84000B
	v_and_b32_e32 v4, 15, v0                                   // 00000000555C: 2608008F
	v_lshlrev_b32_e32 v4, 2, v4                                // 000000005560: 24080882
	buffer_load_dword v30, v4, s[12:15], 0 offen               // 000000005564: E0501000 80031E04
	v_add_u32_e32 v4, 64, v4                                   // 00000000556C: 680808C0
	buffer_load_dword v31, v4, s[12:15], 0 offen               // 000000005570: E0501000 80031F04
	v_add_u32_e32 v4, 64, v4                                   // 000000005578: 680808C0
	buffer_load_dword v32, v4, s[12:15], 0 offen               // 00000000557C: E0501000 80032004
	v_add_u32_e32 v4, 64, v4                                   // 000000005584: 680808C0

0000000000005588 <label_0AE2>:
	v_lshlrev_b32_e32 v4, 2, v0                                // 000000005588: 24080082
	s_mul_i32 s60, 0x100, s7                                   // 00000000558C: 923C07FF 00000100
	v_add_u32_e32 v79, s60, v4                                 // 000000005594: 689E083C
	v_and_b32_e32 v4, 15, v0                                   // 000000005598: 2608008F
	v_lshlrev_b32_e32 v80, 2, v4                               // 00000000559C: 24A00882
	s_waitcnt lgkmcnt(0)                                       // 0000000055A0: BF8CC07F
	s_barrier                                                  // 0000000055A4: BF8A0000
	v_mov_b32_e32 v76, 0x358637bd                              // 0000000055A8: 7E9802FF 358637BD
	v_max3_f32 v76, |v52|, |v53|, v76                          // 0000000055B0: D1D3034C 05326B34
	v_max3_f32 v76, |v54|, |v55|, v76                          // 0000000055B8: D1D3034C 05326F36
	v_max3_f32 v76, |v64|, |v65|, v76                          // 0000000055C0: D1D3034C 05328340
	v_max3_f32 v76, |v66|, |v67|, v76                          // 0000000055C8: D1D3034C 05328742
	ds_write_b32 v79, v76                                      // 0000000055D0: D81A0000 00004C4F
	s_waitcnt lgkmcnt(0)                                       // 0000000055D8: BF8CC07F
	s_barrier                                                  // 0000000055DC: BF8A0000
	ds_read_b32 v4, v80                                        // 0000000055E0: D86C0000 04000050
	ds_read_b32 v5, v80 offset:64                              // 0000000055E8: D86C0040 05000050
	ds_read_b32 v6, v80 offset:128                             // 0000000055F0: D86C0080 06000050
	ds_read_b32 v7, v80 offset:192                             // 0000000055F8: D86C00C0 07000050
	ds_read_b32 v8, v80 offset:256                             // 000000005600: D86C0100 08000050
	ds_read_b32 v9, v80 offset:320                             // 000000005608: D86C0140 09000050
	ds_read_b32 v10, v80 offset:384                            // 000000005610: D86C0180 0A000050
	ds_read_b32 v11, v80 offset:448                            // 000000005618: D86C01C0 0B000050
	ds_read_b32 v12, v80 offset:512                            // 000000005620: D86C0200 0C000050
	ds_read_b32 v13, v80 offset:576                            // 000000005628: D86C0240 0D000050
	ds_read_b32 v14, v80 offset:640                            // 000000005630: D86C0280 0E000050
	ds_read_b32 v15, v80 offset:704                            // 000000005638: D86C02C0 0F000050
	ds_read_b32 v16, v80 offset:768                            // 000000005640: D86C0300 10000050
	ds_read_b32 v17, v80 offset:832                            // 000000005648: D86C0340 11000050
	ds_read_b32 v18, v80 offset:896                            // 000000005650: D86C0380 12000050
	ds_read_b32 v19, v80 offset:960                            // 000000005658: D86C03C0 13000050
	s_waitcnt lgkmcnt(0)                                       // 000000005660: BF8CC07F
	s_barrier                                                  // 000000005664: BF8A0000
	v_max3_f32 v76, |v4|, |v5|, v76                            // 000000005668: D1D3034C 05320B04
	v_max3_f32 v76, |v6|, |v7|, v76                            // 000000005670: D1D3034C 05320F06
	v_max3_f32 v76, |v8|, |v9|, v76                            // 000000005678: D1D3034C 05321308
	v_max3_f32 v76, |v10|, |v11|, v76                          // 000000005680: D1D3034C 0532170A
	v_max3_f32 v76, |v12|, |v13|, v76                          // 000000005688: D1D3034C 05321B0C
	v_max3_f32 v76, |v14|, |v15|, v76                          // 000000005690: D1D3034C 05321F0E
	v_max3_f32 v76, |v16|, |v17|, v76                          // 000000005698: D1D3034C 05322310
	v_max3_f32 v76, |v18|, |v19|, v76                          // 0000000056A0: D1D3034C 05322712
	v_rcp_f32_e32 v76, v76                                     // 0000000056A8: 7E98454C
	v_mov_b32_e32 v4, 0x43700000                               // 0000000056AC: 7E0802FF 43700000
	v_mul_f32_e32 v76, v4, v76                                 // 0000000056B4: 0A989904
	v_mov_b32_e32 v4, v76                                      // 0000000056B8: 7E08034C
	v_mov_b32_e32 v5, v4                                       // 0000000056BC: 7E0A0304
	v_pk_mul_f32 v[52:53], v[4:5], v[52:53]                    // 0000000056C0: D3B14034 18026904
	v_pk_mul_f32 v[54:55], v[4:5], v[54:55]                    // 0000000056C8: D3B14036 18026D04
	v_cvt_pk_fp8_f32 v52, v52, v53                             // 0000000056D0: D2A20034 00026B34
	v_cvt_pk_fp8_f32 v52, v54, v55 op_sel:[0,0,1]              // 0000000056D8: D2A24034 00026F36
	v_pk_mul_f32 v[64:65], v[4:5], v[64:65]                    // 0000000056E0: D3B14040 18028104
	v_pk_mul_f32 v[66:67], v[4:5], v[66:67]                    // 0000000056E8: D3B14042 18028504
	v_cvt_pk_fp8_f32 v64, v64, v65                             // 0000000056F0: D2A20040 00028340
	v_cvt_pk_fp8_f32 v64, v66, v67 op_sel:[0,0,1]              // 0000000056F8: D2A24040 00028742
	v_rcp_f32_e32 v76, v76                                     // 000000005700: 7E98454C
	v_mov_b32_e32 v77, 0x358637bd                              // 000000005704: 7E9A02FF 358637BD
	v_max3_f32 v77, |v56|, |v57|, v77                          // 00000000570C: D1D3034D 05367338
	v_max3_f32 v77, |v58|, |v59|, v77                          // 000000005714: D1D3034D 0536773A
	v_max3_f32 v77, |v68|, |v69|, v77                          // 00000000571C: D1D3034D 05368B44
	v_max3_f32 v77, |v70|, |v71|, v77                          // 000000005724: D1D3034D 05368F46
	ds_write_b32 v79, v77                                      // 00000000572C: D81A0000 00004D4F
	s_waitcnt lgkmcnt(0)                                       // 000000005734: BF8CC07F
	s_barrier                                                  // 000000005738: BF8A0000
	ds_read_b32 v4, v80                                        // 00000000573C: D86C0000 04000050
	ds_read_b32 v5, v80 offset:64                              // 000000005744: D86C0040 05000050
	ds_read_b32 v6, v80 offset:128                             // 00000000574C: D86C0080 06000050
	ds_read_b32 v7, v80 offset:192                             // 000000005754: D86C00C0 07000050
	ds_read_b32 v8, v80 offset:256                             // 00000000575C: D86C0100 08000050
	ds_read_b32 v9, v80 offset:320                             // 000000005764: D86C0140 09000050
	ds_read_b32 v10, v80 offset:384                            // 00000000576C: D86C0180 0A000050
	ds_read_b32 v11, v80 offset:448                            // 000000005774: D86C01C0 0B000050
	ds_read_b32 v12, v80 offset:512                            // 00000000577C: D86C0200 0C000050
	ds_read_b32 v13, v80 offset:576                            // 000000005784: D86C0240 0D000050
	ds_read_b32 v14, v80 offset:640                            // 00000000578C: D86C0280 0E000050
	ds_read_b32 v15, v80 offset:704                            // 000000005794: D86C02C0 0F000050
	ds_read_b32 v16, v80 offset:768                            // 00000000579C: D86C0300 10000050
	ds_read_b32 v17, v80 offset:832                            // 0000000057A4: D86C0340 11000050
	ds_read_b32 v18, v80 offset:896                            // 0000000057AC: D86C0380 12000050
	ds_read_b32 v19, v80 offset:960                            // 0000000057B4: D86C03C0 13000050
	s_waitcnt lgkmcnt(0)                                       // 0000000057BC: BF8CC07F
	s_barrier                                                  // 0000000057C0: BF8A0000
	v_max3_f32 v77, |v4|, |v5|, v77                            // 0000000057C4: D1D3034D 05360B04
	v_max3_f32 v77, |v6|, |v7|, v77                            // 0000000057CC: D1D3034D 05360F06
	v_max3_f32 v77, |v8|, |v9|, v77                            // 0000000057D4: D1D3034D 05361308
	v_max3_f32 v77, |v10|, |v11|, v77                          // 0000000057DC: D1D3034D 0536170A
	v_max3_f32 v77, |v12|, |v13|, v77                          // 0000000057E4: D1D3034D 05361B0C
	v_max3_f32 v77, |v14|, |v15|, v77                          // 0000000057EC: D1D3034D 05361F0E
	v_max3_f32 v77, |v16|, |v17|, v77                          // 0000000057F4: D1D3034D 05362310
	v_max3_f32 v77, |v18|, |v19|, v77                          // 0000000057FC: D1D3034D 05362712
	v_rcp_f32_e32 v77, v77                                     // 000000005804: 7E9A454D
	v_mov_b32_e32 v4, 0x43700000                               // 000000005808: 7E0802FF 43700000
	v_mul_f32_e32 v77, v4, v77                                 // 000000005810: 0A9A9B04
	v_mov_b32_e32 v4, v77                                      // 000000005814: 7E08034D
	v_mov_b32_e32 v5, v4                                       // 000000005818: 7E0A0304
	v_pk_mul_f32 v[56:57], v[4:5], v[56:57]                    // 00000000581C: D3B14038 18027104
	v_pk_mul_f32 v[58:59], v[4:5], v[58:59]                    // 000000005824: D3B1403A 18027504
	v_cvt_pk_fp8_f32 v56, v56, v57                             // 00000000582C: D2A20038 00027338
	v_cvt_pk_fp8_f32 v56, v58, v59 op_sel:[0,0,1]              // 000000005834: D2A24038 0002773A
	v_pk_mul_f32 v[68:69], v[4:5], v[68:69]                    // 00000000583C: D3B14044 18028904
	v_pk_mul_f32 v[70:71], v[4:5], v[70:71]                    // 000000005844: D3B14046 18028D04
	v_cvt_pk_fp8_f32 v68, v68, v69                             // 00000000584C: D2A20044 00028B44
	v_cvt_pk_fp8_f32 v68, v70, v71 op_sel:[0,0,1]              // 000000005854: D2A24044 00028F46
	v_rcp_f32_e32 v77, v77                                     // 00000000585C: 7E9A454D
	v_mov_b32_e32 v78, 0x358637bd                              // 000000005860: 7E9C02FF 358637BD
	v_max3_f32 v78, |v60|, |v61|, v78                          // 000000005868: D1D3034E 053A7B3C
	v_max3_f32 v78, |v62|, |v63|, v78                          // 000000005870: D1D3034E 053A7F3E
	v_max3_f32 v78, |v72|, |v73|, v78                          // 000000005878: D1D3034E 053A9348
	v_max3_f32 v78, |v74|, |v75|, v78                          // 000000005880: D1D3034E 053A974A
	ds_write_b32 v79, v78                                      // 000000005888: D81A0000 00004E4F
	s_waitcnt lgkmcnt(0)                                       // 000000005890: BF8CC07F
	s_barrier                                                  // 000000005894: BF8A0000
	ds_read_b32 v4, v80                                        // 000000005898: D86C0000 04000050
	ds_read_b32 v5, v80 offset:64                              // 0000000058A0: D86C0040 05000050
	ds_read_b32 v6, v80 offset:128                             // 0000000058A8: D86C0080 06000050
	ds_read_b32 v7, v80 offset:192                             // 0000000058B0: D86C00C0 07000050
	ds_read_b32 v8, v80 offset:256                             // 0000000058B8: D86C0100 08000050
	ds_read_b32 v9, v80 offset:320                             // 0000000058C0: D86C0140 09000050
	ds_read_b32 v10, v80 offset:384                            // 0000000058C8: D86C0180 0A000050
	ds_read_b32 v11, v80 offset:448                            // 0000000058D0: D86C01C0 0B000050
	ds_read_b32 v12, v80 offset:512                            // 0000000058D8: D86C0200 0C000050
	ds_read_b32 v13, v80 offset:576                            // 0000000058E0: D86C0240 0D000050
	ds_read_b32 v14, v80 offset:640                            // 0000000058E8: D86C0280 0E000050
	ds_read_b32 v15, v80 offset:704                            // 0000000058F0: D86C02C0 0F000050
	ds_read_b32 v16, v80 offset:768                            // 0000000058F8: D86C0300 10000050
	ds_read_b32 v17, v80 offset:832                            // 000000005900: D86C0340 11000050
	ds_read_b32 v18, v80 offset:896                            // 000000005908: D86C0380 12000050
	ds_read_b32 v19, v80 offset:960                            // 000000005910: D86C03C0 13000050
	s_waitcnt lgkmcnt(0)                                       // 000000005918: BF8CC07F
	s_barrier                                                  // 00000000591C: BF8A0000
	v_max3_f32 v78, |v4|, |v5|, v78                            // 000000005920: D1D3034E 053A0B04
	v_max3_f32 v78, |v6|, |v7|, v78                            // 000000005928: D1D3034E 053A0F06
	v_max3_f32 v78, |v8|, |v9|, v78                            // 000000005930: D1D3034E 053A1308
	v_max3_f32 v78, |v10|, |v11|, v78                          // 000000005938: D1D3034E 053A170A
	v_max3_f32 v78, |v12|, |v13|, v78                          // 000000005940: D1D3034E 053A1B0C
	v_max3_f32 v78, |v14|, |v15|, v78                          // 000000005948: D1D3034E 053A1F0E
	v_max3_f32 v78, |v16|, |v17|, v78                          // 000000005950: D1D3034E 053A2310
	v_max3_f32 v78, |v18|, |v19|, v78                          // 000000005958: D1D3034E 053A2712
	v_rcp_f32_e32 v78, v78                                     // 000000005960: 7E9C454E
	v_mov_b32_e32 v4, 0x43700000                               // 000000005964: 7E0802FF 43700000
	v_mul_f32_e32 v78, v4, v78                                 // 00000000596C: 0A9C9D04
	v_mov_b32_e32 v4, v78                                      // 000000005970: 7E08034E
	v_mov_b32_e32 v5, v4                                       // 000000005974: 7E0A0304
	v_pk_mul_f32 v[60:61], v[4:5], v[60:61]                    // 000000005978: D3B1403C 18027904
	v_pk_mul_f32 v[62:63], v[4:5], v[62:63]                    // 000000005980: D3B1403E 18027D04
	v_cvt_pk_fp8_f32 v60, v60, v61                             // 000000005988: D2A2003C 00027B3C
	v_cvt_pk_fp8_f32 v60, v62, v63 op_sel:[0,0,1]              // 000000005990: D2A2403C 00027F3E
	v_pk_mul_f32 v[72:73], v[4:5], v[72:73]                    // 000000005998: D3B14048 18029104
	v_pk_mul_f32 v[74:75], v[4:5], v[74:75]                    // 0000000059A0: D3B1404A 18029504
	v_cvt_pk_fp8_f32 v72, v72, v73                             // 0000000059A8: D2A20048 00029348
	v_cvt_pk_fp8_f32 v72, v74, v75 op_sel:[0,0,1]              // 0000000059B0: D2A24048 0002974A
	v_rcp_f32_e32 v78, v78                                     // 0000000059B8: 7E9C454E
	v_lshrrev_b32_e32 v4, 5, v0                                // 0000000059BC: 20080085
	v_mul_lo_u32 v20, 34, v4                                   // 0000000059C0: D2850014 000208A2
	v_and_b32_e32 v4, 31, v0                                   // 0000000059C8: 2608009F
	v_lshrrev_b32_e32 v5, 4, v4                                // 0000000059CC: 200A0884
	v_add_u32_e32 v20, v5, v20                                 // 0000000059D0: 68282905
	v_and_b32_e32 v4, 15, v0                                   // 0000000059D4: 2608008F
	v_mul_lo_u32 v5, 2, v4                                     // 0000000059D8: D2850005 00020882
	v_add_u32_e32 v20, v5, v20                                 // 0000000059E0: 68282905
	s_mul_i32 s60, s7, 0x44                                    // 0000000059E4: 923CFF07 00000044
	v_add_u32_e32 v20, s60, v20                                // 0000000059EC: 6828283C
	v_lshlrev_b32_e32 v20, 2, v20                              // 0000000059F0: 24282882
	ds_write_b32 v20, v52                                      // 0000000059F4: D81A0000 00003414
	ds_write_b32 v20, v56 offset:2176                          // 0000000059FC: D81A0880 00003814
	ds_write_b32 v20, v60 offset:4352                          // 000000005A04: D81A1100 00003C14
	ds_write_b32 v20, v64 offset:1088                          // 000000005A0C: D81A0440 00004014
	ds_write_b32 v20, v68 offset:3264                          // 000000005A14: D81A0CC0 00004414
	ds_write_b32 v20, v72 offset:5440                          // 000000005A1C: D81A1540 00004814
	v_lshrrev_b32_e32 v4, 5, v0                                // 000000005A24: 20080085
	v_xor_b32_e32 v5, 1, v4                                    // 000000005A28: 2A0A0881
	s_mul_i32 s60, s65, 1                                      // 000000005A2C: 923C8141
	s_cmp_eq_u32 s88, 0                                        // 000000005A30: BF068058
	s_cselect_b32 s61, 1, 8                                    // 000000005A34: 853D8881
	s_mul_i32 s60, s61, s60                                    // 000000005A38: 923C3C3D
	v_readlane_b32 s82, v3, 0                                  // 000000005A3C: D2890052 00010103
	s_lshr_b32 s61, s82, 24                                    // 000000005A44: 8F3D9852
	s_and_b32 s82, s82, 0xffffff                               // 000000005A48: 8652FF52 00FFFFFF
	s_mul_i32 s82, s82, s71                                    // 000000005A50: 92524752
	s_mul_i32 s61, s60, s61                                    // 000000005A54: 923D3D3C
	s_add_u32 s82, s82, s61                                    // 000000005A58: 80523D52
	v_mul_lo_u32 v6, v5, s82                                   // 000000005A5C: D2850006 0000A505
	v_readlane_b32 s82, v3, 1                                  // 000000005A64: D2890052 00010303
	s_lshr_b32 s61, s82, 24                                    // 000000005A6C: 8F3D9852
	s_and_b32 s82, s82, 0xffffff                               // 000000005A70: 8652FF52 00FFFFFF
	s_mul_i32 s82, s82, s71                                    // 000000005A78: 92524752
	s_mul_i32 s61, s60, s61                                    // 000000005A7C: 923D3D3C
	s_add_u32 s82, s82, s61                                    // 000000005A80: 80523D52
	v_mul_lo_u32 v7, v4, s82                                   // 000000005A84: D2850007 0000A504
	v_add_u32_e32 v42, v6, v7                                  // 000000005A8C: 68540F06
	v_readlane_b32 s82, v3, 2                                  // 000000005A90: D2890052 00010503
	s_lshr_b32 s61, s82, 24                                    // 000000005A98: 8F3D9852
	s_and_b32 s82, s82, 0xffffff                               // 000000005A9C: 8652FF52 00FFFFFF
	s_mul_i32 s82, s82, s71                                    // 000000005AA4: 92524752
	s_mul_i32 s61, s60, s61                                    // 000000005AA8: 923D3D3C
	s_add_u32 s82, s82, s61                                    // 000000005AAC: 80523D52
	v_mul_lo_u32 v6, v5, s82                                   // 000000005AB0: D2850006 0000A505
	v_readlane_b32 s82, v3, 3                                  // 000000005AB8: D2890052 00010703
	s_lshr_b32 s61, s82, 24                                    // 000000005AC0: 8F3D9852
	s_and_b32 s82, s82, 0xffffff                               // 000000005AC4: 8652FF52 00FFFFFF
	s_mul_i32 s82, s82, s71                                    // 000000005ACC: 92524752
	s_mul_i32 s61, s60, s61                                    // 000000005AD0: 923D3D3C
	s_add_u32 s82, s82, s61                                    // 000000005AD4: 80523D52
	v_mul_lo_u32 v7, v4, s82                                   // 000000005AD8: D2850007 0000A504
	v_add_u32_e32 v43, v6, v7                                  // 000000005AE0: 68560F06
	v_readlane_b32 s82, v3, 4                                  // 000000005AE4: D2890052 00010903
	s_lshr_b32 s61, s82, 24                                    // 000000005AEC: 8F3D9852
	s_and_b32 s82, s82, 0xffffff                               // 000000005AF0: 8652FF52 00FFFFFF
	s_mul_i32 s82, s82, s71                                    // 000000005AF8: 92524752
	s_mul_i32 s61, s60, s61                                    // 000000005AFC: 923D3D3C
	s_add_u32 s82, s82, s61                                    // 000000005B00: 80523D52
	v_mul_lo_u32 v6, v5, s82                                   // 000000005B04: D2850006 0000A505
	v_readlane_b32 s82, v3, 5                                  // 000000005B0C: D2890052 00010B03
	s_lshr_b32 s61, s82, 24                                    // 000000005B14: 8F3D9852
	s_and_b32 s82, s82, 0xffffff                               // 000000005B18: 8652FF52 00FFFFFF
	s_mul_i32 s82, s82, s71                                    // 000000005B20: 92524752
	s_mul_i32 s61, s60, s61                                    // 000000005B24: 923D3D3C
	s_add_u32 s82, s82, s61                                    // 000000005B28: 80523D52
	v_mul_lo_u32 v7, v4, s82                                   // 000000005B2C: D2850007 0000A504
	v_add_u32_e32 v44, v6, v7                                  // 000000005B34: 68580F06
	v_readlane_b32 s82, v3, 6                                  // 000000005B38: D2890052 00010D03
	s_lshr_b32 s61, s82, 24                                    // 000000005B40: 8F3D9852
	s_and_b32 s82, s82, 0xffffff                               // 000000005B44: 8652FF52 00FFFFFF
	s_mul_i32 s82, s82, s71                                    // 000000005B4C: 92524752
	s_mul_i32 s61, s60, s61                                    // 000000005B50: 923D3D3C
	s_add_u32 s82, s82, s61                                    // 000000005B54: 80523D52
	v_mul_lo_u32 v6, v5, s82                                   // 000000005B58: D2850006 0000A505
	v_readlane_b32 s82, v3, 7                                  // 000000005B60: D2890052 00010F03
	s_lshr_b32 s61, s82, 24                                    // 000000005B68: 8F3D9852
	s_and_b32 s82, s82, 0xffffff                               // 000000005B6C: 8652FF52 00FFFFFF
	s_mul_i32 s82, s82, s71                                    // 000000005B74: 92524752
	s_mul_i32 s61, s60, s61                                    // 000000005B78: 923D3D3C
	s_add_u32 s82, s82, s61                                    // 000000005B7C: 80523D52
	v_mul_lo_u32 v7, v4, s82                                   // 000000005B80: D2850007 0000A504
	v_add_u32_e32 v45, v6, v7                                  // 000000005B88: 685A0F06
	v_readlane_b32 s82, v3, 8                                  // 000000005B8C: D2890052 00011103
	s_lshr_b32 s61, s82, 24                                    // 000000005B94: 8F3D9852
	s_and_b32 s82, s82, 0xffffff                               // 000000005B98: 8652FF52 00FFFFFF
	s_mul_i32 s82, s82, s71                                    // 000000005BA0: 92524752
	s_mul_i32 s61, s60, s61                                    // 000000005BA4: 923D3D3C
	s_add_u32 s82, s82, s61                                    // 000000005BA8: 80523D52
	v_mul_lo_u32 v6, v5, s82                                   // 000000005BAC: D2850006 0000A505
	v_readlane_b32 s82, v3, 9                                  // 000000005BB4: D2890052 00011303
	s_lshr_b32 s61, s82, 24                                    // 000000005BBC: 8F3D9852
	s_and_b32 s82, s82, 0xffffff                               // 000000005BC0: 8652FF52 00FFFFFF
	s_mul_i32 s82, s82, s71                                    // 000000005BC8: 92524752
	s_mul_i32 s61, s60, s61                                    // 000000005BCC: 923D3D3C
	s_add_u32 s82, s82, s61                                    // 000000005BD0: 80523D52
	v_mul_lo_u32 v7, v4, s82                                   // 000000005BD4: D2850007 0000A504
	v_add_u32_e32 v46, v6, v7                                  // 000000005BDC: 685C0F06
	v_readlane_b32 s82, v3, 10                                 // 000000005BE0: D2890052 00011503
	s_lshr_b32 s61, s82, 24                                    // 000000005BE8: 8F3D9852
	s_and_b32 s82, s82, 0xffffff                               // 000000005BEC: 8652FF52 00FFFFFF
	s_mul_i32 s82, s82, s71                                    // 000000005BF4: 92524752
	s_mul_i32 s61, s60, s61                                    // 000000005BF8: 923D3D3C
	s_add_u32 s82, s82, s61                                    // 000000005BFC: 80523D52
	v_mul_lo_u32 v6, v5, s82                                   // 000000005C00: D2850006 0000A505
	v_readlane_b32 s82, v3, 11                                 // 000000005C08: D2890052 00011703
	s_lshr_b32 s61, s82, 24                                    // 000000005C10: 8F3D9852
	s_and_b32 s82, s82, 0xffffff                               // 000000005C14: 8652FF52 00FFFFFF
	s_mul_i32 s82, s82, s71                                    // 000000005C1C: 92524752
	s_mul_i32 s61, s60, s61                                    // 000000005C20: 923D3D3C
	s_add_u32 s82, s82, s61                                    // 000000005C24: 80523D52
	v_mul_lo_u32 v7, v4, s82                                   // 000000005C28: D2850007 0000A504
	v_add_u32_e32 v47, v6, v7                                  // 000000005C30: 685E0F06
	v_and_b32_e32 v4, 31, v0                                   // 000000005C34: 2608009F
	v_lshrrev_b32_e32 v4, 1, v4                                // 000000005C38: 20080881
	s_cmp_eq_u32 s88, 0                                        // 000000005C3C: BF068058
	s_cselect_b32 s61, 2, 4                                    // 000000005C40: 853D8482
	v_mul_lo_u32 v4, v4, s61                                   // 000000005C44: D2850004 00007B04
	v_and_b32_e64 v5, v0, 1                                    // 000000005C4C: D1130005 00010300
	v_add_u32_e32 v4, v4, v5                                   // 000000005C54: 68080B04
	v_lshlrev_b32_e32 v4, 2, v4                                // 000000005C58: 24080882
	v_add_u32_e32 v42, v42, v4                                 // 000000005C5C: 6854092A
	v_add_u32_e32 v43, v43, v4                                 // 000000005C60: 6856092B
	v_add_u32_e32 v44, v44, v4                                 // 000000005C64: 6858092C
	v_add_u32_e32 v45, v45, v4                                 // 000000005C68: 685A092D
	v_add_u32_e32 v46, v46, v4                                 // 000000005C6C: 685C092E
	v_add_u32_e32 v47, v47, v4                                 // 000000005C70: 685E092F
	s_waitcnt lgkmcnt(0)                                       // 000000005C74: BF8CC07F
	s_barrier                                                  // 000000005C78: BF8A0000
	ds_read_b32 v52, v21                                       // 000000005C7C: D86C0000 34000015
	ds_read_b32 v53, v21 offset:64                             // 000000005C84: D86C0040 35000015
	ds_read_b32 v54, v21 offset:2176                           // 000000005C8C: D86C0880 36000015
	ds_read_b32 v55, v21 offset:2240                           // 000000005C94: D86C08C0 37000015
	ds_read_b32 v56, v21 offset:4352                           // 000000005C9C: D86C1100 38000015
	ds_read_b32 v57, v21 offset:4416                           // 000000005CA4: D86C1140 39000015
	s_waitcnt lgkmcnt(0)                                       // 000000005CAC: BF8CC07F
	s_mov_b32 s36, -1                                          // 000000005CB0: BEA400C1
	s_mov_b32 s37, -1                                          // 000000005CB4: BEA500C1
	v_mov_b32_e32 v7, 0                                        // 000000005CB8: 7E0E0280
	s_or_b32 s9, s9, 0x40000                                   // 000000005CBC: 8709FF09 00040000
	s_mov_b64 exec, s[36:37]                                   // 000000005CC4: BEFE0124
	v_mov_b32_e32 v6, v42                                      // 000000005CC8: 7E0C032A
	s_mov_b64 s[60:61], 0                                      // 000000005CCC: BEBC0180
	v_readlane_b32 s82, v3, 0                                  // 000000005CD0: D2890052 00010103
	s_and_b32 s82, s82, 0xffffff                               // 000000005CD8: 8652FF52 00FFFFFF
	s_cmp_lt_u32 s82, s66                                      // 000000005CE0: BF0A4252
	s_cselect_b32 s20, s36, s60                                // 000000005CE4: 85143C24
	v_readlane_b32 s82, v3, 1                                  // 000000005CE8: D2890052 00010303
	s_and_b32 s82, s82, 0xffffff                               // 000000005CF0: 8652FF52 00FFFFFF
	s_cmp_lt_u32 s82, s66                                      // 000000005CF8: BF0A4252
	s_cselect_b32 s21, s36, s60                                // 000000005CFC: 85153C24
	s_mov_b64 exec, s[20:21]                                   // 000000005D00: BEFE0114
	buffer_store_dword v52, v6, s[8:11], 0 offen               // 000000005D04: E0701000 80023406
	s_mov_b64 exec, s[36:37]                                   // 000000005D0C: BEFE0124
	v_mov_b32_e32 v6, v43                                      // 000000005D10: 7E0C032B
	s_mov_b64 s[60:61], 0                                      // 000000005D14: BEBC0180
	v_readlane_b32 s82, v3, 2                                  // 000000005D18: D2890052 00010503
	s_and_b32 s82, s82, 0xffffff                               // 000000005D20: 8652FF52 00FFFFFF
	s_cmp_lt_u32 s82, s66                                      // 000000005D28: BF0A4252
	s_cselect_b32 s20, s36, s60                                // 000000005D2C: 85143C24
	v_readlane_b32 s82, v3, 3                                  // 000000005D30: D2890052 00010703
	s_and_b32 s82, s82, 0xffffff                               // 000000005D38: 8652FF52 00FFFFFF
	s_cmp_lt_u32 s82, s66                                      // 000000005D40: BF0A4252
	s_cselect_b32 s21, s36, s60                                // 000000005D44: 85153C24
	s_mov_b64 exec, s[20:21]                                   // 000000005D48: BEFE0114
	buffer_store_dword v53, v6, s[8:11], 0 offen               // 000000005D4C: E0701000 80023506
	s_mov_b64 exec, s[36:37]                                   // 000000005D54: BEFE0124
	v_mov_b32_e32 v6, v44                                      // 000000005D58: 7E0C032C
	s_mov_b64 s[60:61], 0                                      // 000000005D5C: BEBC0180
	v_readlane_b32 s82, v3, 4                                  // 000000005D60: D2890052 00010903
	s_and_b32 s82, s82, 0xffffff                               // 000000005D68: 8652FF52 00FFFFFF
	s_cmp_lt_u32 s82, s66                                      // 000000005D70: BF0A4252
	s_cselect_b32 s20, s36, s60                                // 000000005D74: 85143C24
	v_readlane_b32 s82, v3, 5                                  // 000000005D78: D2890052 00010B03
	s_and_b32 s82, s82, 0xffffff                               // 000000005D80: 8652FF52 00FFFFFF
	s_cmp_lt_u32 s82, s66                                      // 000000005D88: BF0A4252
	s_cselect_b32 s21, s36, s60                                // 000000005D8C: 85153C24
	s_mov_b64 exec, s[20:21]                                   // 000000005D90: BEFE0114
	buffer_store_dword v54, v6, s[8:11], 0 offen               // 000000005D94: E0701000 80023606
	s_mov_b64 exec, s[36:37]                                   // 000000005D9C: BEFE0124
	v_mov_b32_e32 v6, v45                                      // 000000005DA0: 7E0C032D
	s_mov_b64 s[60:61], 0                                      // 000000005DA4: BEBC0180
	v_readlane_b32 s82, v3, 6                                  // 000000005DA8: D2890052 00010D03
	s_and_b32 s82, s82, 0xffffff                               // 000000005DB0: 8652FF52 00FFFFFF
	s_cmp_lt_u32 s82, s66                                      // 000000005DB8: BF0A4252
	s_cselect_b32 s20, s36, s60                                // 000000005DBC: 85143C24
	v_readlane_b32 s82, v3, 7                                  // 000000005DC0: D2890052 00010F03
	s_and_b32 s82, s82, 0xffffff                               // 000000005DC8: 8652FF52 00FFFFFF
	s_cmp_lt_u32 s82, s66                                      // 000000005DD0: BF0A4252
	s_cselect_b32 s21, s36, s60                                // 000000005DD4: 85153C24
	s_mov_b64 exec, s[20:21]                                   // 000000005DD8: BEFE0114
	buffer_store_dword v55, v6, s[8:11], 0 offen               // 000000005DDC: E0701000 80023706
	s_mov_b64 exec, s[36:37]                                   // 000000005DE4: BEFE0124
	v_mov_b32_e32 v6, v46                                      // 000000005DE8: 7E0C032E
	s_mov_b64 s[60:61], 0                                      // 000000005DEC: BEBC0180
	v_readlane_b32 s82, v3, 8                                  // 000000005DF0: D2890052 00011103
	s_and_b32 s82, s82, 0xffffff                               // 000000005DF8: 8652FF52 00FFFFFF
	s_cmp_lt_u32 s82, s66                                      // 000000005E00: BF0A4252
	s_cselect_b32 s20, s36, s60                                // 000000005E04: 85143C24
	v_readlane_b32 s82, v3, 9                                  // 000000005E08: D2890052 00011303
	s_and_b32 s82, s82, 0xffffff                               // 000000005E10: 8652FF52 00FFFFFF
	s_cmp_lt_u32 s82, s66                                      // 000000005E18: BF0A4252
	s_cselect_b32 s21, s36, s60                                // 000000005E1C: 85153C24
	s_mov_b64 exec, s[20:21]                                   // 000000005E20: BEFE0114
	buffer_store_dword v56, v6, s[8:11], 0 offen               // 000000005E24: E0701000 80023806
	s_mov_b64 exec, s[36:37]                                   // 000000005E2C: BEFE0124
	v_mov_b32_e32 v6, v47                                      // 000000005E30: 7E0C032F
	s_mov_b64 s[60:61], 0                                      // 000000005E34: BEBC0180
	v_readlane_b32 s82, v3, 10                                 // 000000005E38: D2890052 00011503
	s_and_b32 s82, s82, 0xffffff                               // 000000005E40: 8652FF52 00FFFFFF
	s_cmp_lt_u32 s82, s66                                      // 000000005E48: BF0A4252
	s_cselect_b32 s20, s36, s60                                // 000000005E4C: 85143C24
	v_readlane_b32 s82, v3, 11                                 // 000000005E50: D2890052 00011703
	s_and_b32 s82, s82, 0xffffff                               // 000000005E58: 8652FF52 00FFFFFF
	s_cmp_lt_u32 s82, s66                                      // 000000005E60: BF0A4252
	s_cselect_b32 s21, s36, s60                                // 000000005E64: 85153C24
	s_mov_b64 exec, s[20:21]                                   // 000000005E68: BEFE0114
	buffer_store_dword v57, v6, s[8:11], 0 offen               // 000000005E6C: E0701000 80023906
	s_mov_b64 exec, s[36:37]                                   // 000000005E74: BEFE0124
	s_cmp_eq_u32 s7, 0                                         // 000000005E78: BF068007
	s_cbranch_scc0 label_1EAE                                  // 000000005E7C: BF84118B
	s_waitcnt vmcnt(6)                                         // 000000005E80: BF8C0F76
	s_mov_b32 s8, s90                                          // 000000005E84: BE88005A
	s_mov_b32 s9, s91                                          // 000000005E88: BE89005B
	s_mul_i32 s60, s66, s71                                    // 000000005E8C: 923C4742
	s_add_u32 s8, s60, s8                                      // 000000005E90: 8008083C
	s_addc_u32 s9, 0, s9                                       // 000000005E94: 82090980
	s_lshr_b32 s71, s71, 5                                     // 000000005E98: 8F478547
	s_mul_i32 s60, s66, s71                                    // 000000005E9C: 923C4742
	s_mov_b32 s10, s60                                         // 000000005EA0: BE8A003C
	s_lshr_b32 s61, s65, 5                                     // 000000005EA4: 8F3D8541
	s_mul_i32 s60, s2, 4                                       // 000000005EA8: 923C8402
	v_lshrrev_b32_e32 v4, 24, v30                              // 000000005EAC: 20083C98
	v_mul_lo_u32 v4, s61, v4                                   // 000000005EB0: D2850004 0002083D
	v_and_b32_e32 v30, 0xffffff, v30                           // 000000005EB8: 263C3CFF 00FFFFFF
	v_mul_lo_u32 v30, s71, v30                                 // 000000005EC0: D285001E 00023C47
	v_add_u32_e32 v30, v4, v30                                 // 000000005EC8: 683C3D04
	v_add_u32_e32 v30, s60, v30                                // 000000005ECC: 683C3C3C
	v_lshrrev_b32_e32 v4, 24, v31                              // 000000005ED0: 20083E98
	v_mul_lo_u32 v4, s61, v4                                   // 000000005ED4: D2850004 0002083D
	v_and_b32_e32 v31, 0xffffff, v31                           // 000000005EDC: 263E3EFF 00FFFFFF
	v_mul_lo_u32 v31, s71, v31                                 // 000000005EE4: D285001F 00023E47
	v_add_u32_e32 v31, v4, v31                                 // 000000005EEC: 683E3F04
	v_add_u32_e32 v31, s60, v31                                // 000000005EF0: 683E3E3C
	v_lshrrev_b32_e32 v4, 24, v32                              // 000000005EF4: 20084098
	v_mul_lo_u32 v4, s61, v4                                   // 000000005EF8: D2850004 0002083D
	v_and_b32_e32 v32, 0xffffff, v32                           // 000000005F00: 264040FF 00FFFFFF
	v_mul_lo_u32 v32, s71, v32                                 // 000000005F08: D2850020 00024047
	v_add_u32_e32 v32, v4, v32                                 // 000000005F10: 68404104
	v_add_u32_e32 v32, s60, v32                                // 000000005F14: 6840403C
	s_mov_b64 exec, 0xffff                                     // 000000005F18: BEFE01FF 0000FFFF
	buffer_store_dword v76, v30, s[8:11], 0 offen              // 000000005F20: E0701000 80024C1E
	buffer_store_dword v77, v31, s[8:11], 0 offen              // 000000005F28: E0701000 80024D1F
	buffer_store_dword v78, v32, s[8:11], 0 offen              // 000000005F30: E0701000 80024E20
	s_mov_b64 exec, s[36:37]                                   // 000000005F38: BEFE0124
	s_branch label_1EAE                                        // 000000005F3C: BF82115B

0000000000005f40 <label_0D50>:
	ds_write_b64 v20, v[52:53]                                 // 000000005F40: D89A0000 00003414
	ds_write_b64 v20, v[56:57] offset:4352                     // 000000005F48: D89A1100 00003814
	ds_write_b64 v20, v[60:61] offset:8704                     // 000000005F50: D89A2200 00003C14
	ds_write_b64 v20, v[64:65] offset:2176                     // 000000005F58: D89A0880 00004014
	ds_write_b64 v20, v[68:69] offset:6528                     // 000000005F60: D89A1980 00004414
	ds_write_b64 v20, v[72:73] offset:10880                    // 000000005F68: D89A2A80 00004814
	v_lshrrev_b32_e32 v4, 5, v0                                // 000000005F70: 20080085
	v_xor_b32_e32 v5, 1, v4                                    // 000000005F74: 2A0A0881
	s_mul_i32 s60, s65, 1                                      // 000000005F78: 923C8141
	s_cmp_eq_u32 s88, 0                                        // 000000005F7C: BF068058
	s_cselect_b32 s61, 1, 8                                    // 000000005F80: 853D8881
	s_mul_i32 s60, s61, s60                                    // 000000005F84: 923C3C3D
	v_readlane_b32 s82, v3, 0                                  // 000000005F88: D2890052 00010103
	s_lshr_b32 s61, s82, 24                                    // 000000005F90: 8F3D9852
	s_and_b32 s82, s82, 0xffffff                               // 000000005F94: 8652FF52 00FFFFFF
	s_mul_i32 s82, s82, s71                                    // 000000005F9C: 92524752
	s_mul_i32 s61, s60, s61                                    // 000000005FA0: 923D3D3C
	s_add_u32 s82, s82, s61                                    // 000000005FA4: 80523D52
	v_mul_lo_u32 v6, v5, s82                                   // 000000005FA8: D2850006 0000A505
	v_readlane_b32 s82, v3, 1                                  // 000000005FB0: D2890052 00010303
	s_lshr_b32 s61, s82, 24                                    // 000000005FB8: 8F3D9852
	s_and_b32 s82, s82, 0xffffff                               // 000000005FBC: 8652FF52 00FFFFFF
	s_mul_i32 s82, s82, s71                                    // 000000005FC4: 92524752
	s_mul_i32 s61, s60, s61                                    // 000000005FC8: 923D3D3C
	s_add_u32 s82, s82, s61                                    // 000000005FCC: 80523D52
	v_mul_lo_u32 v7, v4, s82                                   // 000000005FD0: D2850007 0000A504
	v_add_u32_e32 v42, v6, v7                                  // 000000005FD8: 68540F06
	v_readlane_b32 s82, v3, 2                                  // 000000005FDC: D2890052 00010503
	s_lshr_b32 s61, s82, 24                                    // 000000005FE4: 8F3D9852
	s_and_b32 s82, s82, 0xffffff                               // 000000005FE8: 8652FF52 00FFFFFF
	s_mul_i32 s82, s82, s71                                    // 000000005FF0: 92524752
	s_mul_i32 s61, s60, s61                                    // 000000005FF4: 923D3D3C
	s_add_u32 s82, s82, s61                                    // 000000005FF8: 80523D52
	v_mul_lo_u32 v6, v5, s82                                   // 000000005FFC: D2850006 0000A505
	v_readlane_b32 s82, v3, 3                                  // 000000006004: D2890052 00010703
	s_lshr_b32 s61, s82, 24                                    // 00000000600C: 8F3D9852
	s_and_b32 s82, s82, 0xffffff                               // 000000006010: 8652FF52 00FFFFFF
	s_mul_i32 s82, s82, s71                                    // 000000006018: 92524752
	s_mul_i32 s61, s60, s61                                    // 00000000601C: 923D3D3C
	s_add_u32 s82, s82, s61                                    // 000000006020: 80523D52
	v_mul_lo_u32 v7, v4, s82                                   // 000000006024: D2850007 0000A504
	v_add_u32_e32 v43, v6, v7                                  // 00000000602C: 68560F06
	v_readlane_b32 s82, v3, 4                                  // 000000006030: D2890052 00010903
	s_lshr_b32 s61, s82, 24                                    // 000000006038: 8F3D9852
	s_and_b32 s82, s82, 0xffffff                               // 00000000603C: 8652FF52 00FFFFFF
	s_mul_i32 s82, s82, s71                                    // 000000006044: 92524752
	s_mul_i32 s61, s60, s61                                    // 000000006048: 923D3D3C
	s_add_u32 s82, s82, s61                                    // 00000000604C: 80523D52
	v_mul_lo_u32 v6, v5, s82                                   // 000000006050: D2850006 0000A505
	v_readlane_b32 s82, v3, 5                                  // 000000006058: D2890052 00010B03
	s_lshr_b32 s61, s82, 24                                    // 000000006060: 8F3D9852
	s_and_b32 s82, s82, 0xffffff                               // 000000006064: 8652FF52 00FFFFFF
	s_mul_i32 s82, s82, s71                                    // 00000000606C: 92524752
	s_mul_i32 s61, s60, s61                                    // 000000006070: 923D3D3C
	s_add_u32 s82, s82, s61                                    // 000000006074: 80523D52
	v_mul_lo_u32 v7, v4, s82                                   // 000000006078: D2850007 0000A504
	v_add_u32_e32 v44, v6, v7                                  // 000000006080: 68580F06
	v_readlane_b32 s82, v3, 6                                  // 000000006084: D2890052 00010D03
	s_lshr_b32 s61, s82, 24                                    // 00000000608C: 8F3D9852
	s_and_b32 s82, s82, 0xffffff                               // 000000006090: 8652FF52 00FFFFFF
	s_mul_i32 s82, s82, s71                                    // 000000006098: 92524752
	s_mul_i32 s61, s60, s61                                    // 00000000609C: 923D3D3C
	s_add_u32 s82, s82, s61                                    // 0000000060A0: 80523D52
	v_mul_lo_u32 v6, v5, s82                                   // 0000000060A4: D2850006 0000A505
	v_readlane_b32 s82, v3, 7                                  // 0000000060AC: D2890052 00010F03
	s_lshr_b32 s61, s82, 24                                    // 0000000060B4: 8F3D9852
	s_and_b32 s82, s82, 0xffffff                               // 0000000060B8: 8652FF52 00FFFFFF
	s_mul_i32 s82, s82, s71                                    // 0000000060C0: 92524752
	s_mul_i32 s61, s60, s61                                    // 0000000060C4: 923D3D3C
	s_add_u32 s82, s82, s61                                    // 0000000060C8: 80523D52
	v_mul_lo_u32 v7, v4, s82                                   // 0000000060CC: D2850007 0000A504
	v_add_u32_e32 v45, v6, v7                                  // 0000000060D4: 685A0F06
	v_readlane_b32 s82, v3, 8                                  // 0000000060D8: D2890052 00011103
	s_lshr_b32 s61, s82, 24                                    // 0000000060E0: 8F3D9852
	s_and_b32 s82, s82, 0xffffff                               // 0000000060E4: 8652FF52 00FFFFFF
	s_mul_i32 s82, s82, s71                                    // 0000000060EC: 92524752
	s_mul_i32 s61, s60, s61                                    // 0000000060F0: 923D3D3C
	s_add_u32 s82, s82, s61                                    // 0000000060F4: 80523D52
	v_mul_lo_u32 v6, v5, s82                                   // 0000000060F8: D2850006 0000A505
	v_readlane_b32 s82, v3, 9                                  // 000000006100: D2890052 00011303
	s_lshr_b32 s61, s82, 24                                    // 000000006108: 8F3D9852
	s_and_b32 s82, s82, 0xffffff                               // 00000000610C: 8652FF52 00FFFFFF
	s_mul_i32 s82, s82, s71                                    // 000000006114: 92524752
	s_mul_i32 s61, s60, s61                                    // 000000006118: 923D3D3C
	s_add_u32 s82, s82, s61                                    // 00000000611C: 80523D52
	v_mul_lo_u32 v7, v4, s82                                   // 000000006120: D2850007 0000A504
	v_add_u32_e32 v46, v6, v7                                  // 000000006128: 685C0F06
	v_readlane_b32 s82, v3, 10                                 // 00000000612C: D2890052 00011503
	s_lshr_b32 s61, s82, 24                                    // 000000006134: 8F3D9852
	s_and_b32 s82, s82, 0xffffff                               // 000000006138: 8652FF52 00FFFFFF
	s_mul_i32 s82, s82, s71                                    // 000000006140: 92524752
	s_mul_i32 s61, s60, s61                                    // 000000006144: 923D3D3C
	s_add_u32 s82, s82, s61                                    // 000000006148: 80523D52
	v_mul_lo_u32 v6, v5, s82                                   // 00000000614C: D2850006 0000A505
	v_readlane_b32 s82, v3, 11                                 // 000000006154: D2890052 00011703
	s_lshr_b32 s61, s82, 24                                    // 00000000615C: 8F3D9852
	s_and_b32 s82, s82, 0xffffff                               // 000000006160: 8652FF52 00FFFFFF
	s_mul_i32 s82, s82, s71                                    // 000000006168: 92524752
	s_mul_i32 s61, s60, s61                                    // 00000000616C: 923D3D3C
	s_add_u32 s82, s82, s61                                    // 000000006170: 80523D52
	v_mul_lo_u32 v7, v4, s82                                   // 000000006174: D2850007 0000A504
	v_add_u32_e32 v47, v6, v7                                  // 00000000617C: 685E0F06
	v_and_b32_e32 v4, 31, v0                                   // 000000006180: 2608009F
	v_lshrrev_b32_e32 v4, 1, v4                                // 000000006184: 20080881
	s_cmp_eq_u32 s88, 0                                        // 000000006188: BF068058
	s_cselect_b32 s61, 2, 4                                    // 00000000618C: 853D8482
	v_mul_lo_u32 v4, v4, s61                                   // 000000006190: D2850004 00007B04
	v_and_b32_e64 v5, v0, 1                                    // 000000006198: D1130005 00010300
	v_add_u32_e32 v4, v4, v5                                   // 0000000061A0: 68080B04
	v_lshlrev_b32_e32 v4, 2, v4                                // 0000000061A4: 24080882
	v_add_u32_e32 v42, v42, v4                                 // 0000000061A8: 6854092A
	v_add_u32_e32 v43, v43, v4                                 // 0000000061AC: 6856092B
	v_add_u32_e32 v44, v44, v4                                 // 0000000061B0: 6858092C
	v_add_u32_e32 v45, v45, v4                                 // 0000000061B4: 685A092D
	v_add_u32_e32 v46, v46, v4                                 // 0000000061B8: 685C092E
	v_add_u32_e32 v47, v47, v4                                 // 0000000061BC: 685E092F
	s_waitcnt lgkmcnt(0)                                       // 0000000061C0: BF8CC07F
	s_barrier                                                  // 0000000061C4: BF8A0000
	ds_read_b32 v52, v21                                       // 0000000061C8: D86C0000 34000015
	ds_read_b32 v53, v21 offset:64                             // 0000000061D0: D86C0040 35000015
	ds_read_b32 v56, v21 offset:2176                           // 0000000061D8: D86C0880 38000015
	ds_read_b32 v57, v21 offset:2240                           // 0000000061E0: D86C08C0 39000015
	ds_read_b32 v60, v21 offset:4352                           // 0000000061E8: D86C1100 3C000015
	ds_read_b32 v61, v21 offset:4416                           // 0000000061F0: D86C1140 3D000015
	ds_read_b32 v64, v21 offset:6528                           // 0000000061F8: D86C1980 40000015
	ds_read_b32 v65, v21 offset:6592                           // 000000006200: D86C19C0 41000015
	ds_read_b32 v68, v21 offset:8704                           // 000000006208: D86C2200 44000015
	ds_read_b32 v69, v21 offset:8768                           // 000000006210: D86C2240 45000015
	ds_read_b32 v72, v21 offset:10880                          // 000000006218: D86C2A80 48000015
	ds_read_b32 v73, v21 offset:10944                          // 000000006220: D86C2AC0 49000015
	s_waitcnt lgkmcnt(0)                                       // 000000006228: BF8CC07F
	s_mov_b32 s36, -1                                          // 00000000622C: BEA400C1
	s_mov_b32 s37, -1                                          // 000000006230: BEA500C1
	v_mov_b32_e32 v7, 0                                        // 000000006234: 7E0E0280
	s_mov_b64 exec, s[36:37]                                   // 000000006238: BEFE0124
	v_mov_b32_e32 v6, v42                                      // 00000000623C: 7E0C032A
	s_mov_b64 s[60:61], 0                                      // 000000006240: BEBC0180
	v_readlane_b32 s82, v3, 0                                  // 000000006244: D2890052 00010103
	s_and_b32 s82, s82, 0xffffff                               // 00000000624C: 8652FF52 00FFFFFF
	s_cmp_lt_u32 s82, s66                                      // 000000006254: BF0A4252
	s_cselect_b32 s20, s36, s60                                // 000000006258: 85143C24
	v_readlane_b32 s82, v3, 1                                  // 00000000625C: D2890052 00010303
	s_and_b32 s82, s82, 0xffffff                               // 000000006264: 8652FF52 00FFFFFF
	s_cmp_lt_u32 s82, s66                                      // 00000000626C: BF0A4252
	s_cselect_b32 s21, s36, s60                                // 000000006270: 85153C24
	s_mov_b64 exec, s[20:21]                                   // 000000006274: BEFE0114
	global_atomic_add_f32 v6, v52, s[8:9]                      // 000000006278: DD348000 00083406
	global_atomic_add_f32 v6, v56, s[8:9] offset:256           // 000000006280: DD348100 00083806
	s_mov_b64 exec, s[36:37]                                   // 000000006288: BEFE0124
	v_mov_b32_e32 v6, v43                                      // 00000000628C: 7E0C032B
	s_mov_b64 s[60:61], 0                                      // 000000006290: BEBC0180
	v_readlane_b32 s82, v3, 2                                  // 000000006294: D2890052 00010503
	s_and_b32 s82, s82, 0xffffff                               // 00000000629C: 8652FF52 00FFFFFF
	s_cmp_lt_u32 s82, s66                                      // 0000000062A4: BF0A4252
	s_cselect_b32 s20, s36, s60                                // 0000000062A8: 85143C24
	v_readlane_b32 s82, v3, 3                                  // 0000000062AC: D2890052 00010703
	s_and_b32 s82, s82, 0xffffff                               // 0000000062B4: 8652FF52 00FFFFFF
	s_cmp_lt_u32 s82, s66                                      // 0000000062BC: BF0A4252
	s_cselect_b32 s21, s36, s60                                // 0000000062C0: 85153C24
	s_mov_b64 exec, s[20:21]                                   // 0000000062C4: BEFE0114
	global_atomic_add_f32 v6, v53, s[8:9]                      // 0000000062C8: DD348000 00083506
	global_atomic_add_f32 v6, v57, s[8:9] offset:256           // 0000000062D0: DD348100 00083906
	s_mov_b64 exec, s[36:37]                                   // 0000000062D8: BEFE0124
	v_mov_b32_e32 v6, v44                                      // 0000000062DC: 7E0C032C
	s_mov_b64 s[60:61], 0                                      // 0000000062E0: BEBC0180
	v_readlane_b32 s82, v3, 4                                  // 0000000062E4: D2890052 00010903
	s_and_b32 s82, s82, 0xffffff                               // 0000000062EC: 8652FF52 00FFFFFF
	s_cmp_lt_u32 s82, s66                                      // 0000000062F4: BF0A4252
	s_cselect_b32 s20, s36, s60                                // 0000000062F8: 85143C24
	v_readlane_b32 s82, v3, 5                                  // 0000000062FC: D2890052 00010B03
	s_and_b32 s82, s82, 0xffffff                               // 000000006304: 8652FF52 00FFFFFF
	s_cmp_lt_u32 s82, s66                                      // 00000000630C: BF0A4252
	s_cselect_b32 s21, s36, s60                                // 000000006310: 85153C24
	s_mov_b64 exec, s[20:21]                                   // 000000006314: BEFE0114
	global_atomic_add_f32 v6, v60, s[8:9]                      // 000000006318: DD348000 00083C06
	global_atomic_add_f32 v6, v64, s[8:9] offset:256           // 000000006320: DD348100 00084006
	s_mov_b64 exec, s[36:37]                                   // 000000006328: BEFE0124
	v_mov_b32_e32 v6, v45                                      // 00000000632C: 7E0C032D
	s_mov_b64 s[60:61], 0                                      // 000000006330: BEBC0180
	v_readlane_b32 s82, v3, 6                                  // 000000006334: D2890052 00010D03
	s_and_b32 s82, s82, 0xffffff                               // 00000000633C: 8652FF52 00FFFFFF
	s_cmp_lt_u32 s82, s66                                      // 000000006344: BF0A4252
	s_cselect_b32 s20, s36, s60                                // 000000006348: 85143C24
	v_readlane_b32 s82, v3, 7                                  // 00000000634C: D2890052 00010F03
	s_and_b32 s82, s82, 0xffffff                               // 000000006354: 8652FF52 00FFFFFF
	s_cmp_lt_u32 s82, s66                                      // 00000000635C: BF0A4252
	s_cselect_b32 s21, s36, s60                                // 000000006360: 85153C24
	s_mov_b64 exec, s[20:21]                                   // 000000006364: BEFE0114
	global_atomic_add_f32 v6, v61, s[8:9]                      // 000000006368: DD348000 00083D06
	global_atomic_add_f32 v6, v65, s[8:9] offset:256           // 000000006370: DD348100 00084106
	s_mov_b64 exec, s[36:37]                                   // 000000006378: BEFE0124
	v_mov_b32_e32 v6, v46                                      // 00000000637C: 7E0C032E
	s_mov_b64 s[60:61], 0                                      // 000000006380: BEBC0180
	v_readlane_b32 s82, v3, 8                                  // 000000006384: D2890052 00011103
	s_and_b32 s82, s82, 0xffffff                               // 00000000638C: 8652FF52 00FFFFFF
	s_cmp_lt_u32 s82, s66                                      // 000000006394: BF0A4252
	s_cselect_b32 s20, s36, s60                                // 000000006398: 85143C24
	v_readlane_b32 s82, v3, 9                                  // 00000000639C: D2890052 00011303
	s_and_b32 s82, s82, 0xffffff                               // 0000000063A4: 8652FF52 00FFFFFF
	s_cmp_lt_u32 s82, s66                                      // 0000000063AC: BF0A4252
	s_cselect_b32 s21, s36, s60                                // 0000000063B0: 85153C24
	s_mov_b64 exec, s[20:21]                                   // 0000000063B4: BEFE0114
	global_atomic_add_f32 v6, v68, s[8:9]                      // 0000000063B8: DD348000 00084406
	global_atomic_add_f32 v6, v72, s[8:9] offset:256           // 0000000063C0: DD348100 00084806
	s_mov_b64 exec, s[36:37]                                   // 0000000063C8: BEFE0124
	v_mov_b32_e32 v6, v47                                      // 0000000063CC: 7E0C032F
	s_mov_b64 s[60:61], 0                                      // 0000000063D0: BEBC0180
	v_readlane_b32 s82, v3, 10                                 // 0000000063D4: D2890052 00011503
	s_and_b32 s82, s82, 0xffffff                               // 0000000063DC: 8652FF52 00FFFFFF
	s_cmp_lt_u32 s82, s66                                      // 0000000063E4: BF0A4252
	s_cselect_b32 s20, s36, s60                                // 0000000063E8: 85143C24
	v_readlane_b32 s82, v3, 11                                 // 0000000063EC: D2890052 00011703
	s_and_b32 s82, s82, 0xffffff                               // 0000000063F4: 8652FF52 00FFFFFF
	s_cmp_lt_u32 s82, s66                                      // 0000000063FC: BF0A4252
	s_cselect_b32 s21, s36, s60                                // 000000006400: 85153C24
	s_mov_b64 exec, s[20:21]                                   // 000000006404: BEFE0114
	global_atomic_add_f32 v6, v69, s[8:9]                      // 000000006408: DD348000 00084506
	global_atomic_add_f32 v6, v73, s[8:9] offset:256           // 000000006410: DD348100 00084906
	s_mov_b64 exec, s[36:37]                                   // 000000006418: BEFE0124
	ds_write_b64 v20, v[54:55]                                 // 00000000641C: D89A0000 00003614
	ds_write_b64 v20, v[58:59] offset:4352                     // 000000006424: D89A1100 00003A14
	ds_write_b64 v20, v[62:63] offset:8704                     // 00000000642C: D89A2200 00003E14
	ds_write_b64 v20, v[66:67] offset:2176                     // 000000006434: D89A0880 00004214
	ds_write_b64 v20, v[70:71] offset:6528                     // 00000000643C: D89A1980 00004614
	ds_write_b64 v20, v[74:75] offset:10880                    // 000000006444: D89A2A80 00004A14
	s_waitcnt lgkmcnt(0)                                       // 00000000644C: BF8CC07F
	s_barrier                                                  // 000000006450: BF8A0000
	ds_read_b32 v54, v21                                       // 000000006454: D86C0000 36000015
	ds_read_b32 v55, v21 offset:64                             // 00000000645C: D86C0040 37000015
	ds_read_b32 v58, v21 offset:2176                           // 000000006464: D86C0880 3A000015
	ds_read_b32 v59, v21 offset:2240                           // 00000000646C: D86C08C0 3B000015
	ds_read_b32 v62, v21 offset:4352                           // 000000006474: D86C1100 3E000015
	ds_read_b32 v63, v21 offset:4416                           // 00000000647C: D86C1140 3F000015
	ds_read_b32 v66, v21 offset:6528                           // 000000006484: D86C1980 42000015
	ds_read_b32 v67, v21 offset:6592                           // 00000000648C: D86C19C0 43000015
	ds_read_b32 v70, v21 offset:8704                           // 000000006494: D86C2200 46000015
	ds_read_b32 v71, v21 offset:8768                           // 00000000649C: D86C2240 47000015
	ds_read_b32 v74, v21 offset:10880                          // 0000000064A4: D86C2A80 4A000015
	ds_read_b32 v75, v21 offset:10944                          // 0000000064AC: D86C2AC0 4B000015
	s_waitcnt lgkmcnt(0)                                       // 0000000064B4: BF8CC07F
	v_mov_b32_e32 v7, 0                                        // 0000000064B8: 7E0E0280
	s_mov_b64 exec, s[36:37]                                   // 0000000064BC: BEFE0124
	v_mov_b32_e32 v6, v42                                      // 0000000064C0: 7E0C032A
	s_mov_b64 s[60:61], 0                                      // 0000000064C4: BEBC0180
	v_readlane_b32 s82, v3, 0                                  // 0000000064C8: D2890052 00010103
	s_and_b32 s82, s82, 0xffffff                               // 0000000064D0: 8652FF52 00FFFFFF
	s_cmp_lt_u32 s82, s66                                      // 0000000064D8: BF0A4252
	s_cselect_b32 s20, s36, s60                                // 0000000064DC: 85143C24
	v_readlane_b32 s82, v3, 1                                  // 0000000064E0: D2890052 00010303
	s_and_b32 s82, s82, 0xffffff                               // 0000000064E8: 8652FF52 00FFFFFF
	s_cmp_lt_u32 s82, s66                                      // 0000000064F0: BF0A4252
	s_cselect_b32 s21, s36, s60                                // 0000000064F4: 85153C24
	s_mov_b64 exec, s[20:21]                                   // 0000000064F8: BEFE0114
	global_atomic_add_f32 v6, v54, s[8:9] offset:8             // 0000000064FC: DD348008 00083606
	global_atomic_add_f32 v6, v58, s[8:9] offset:264           // 000000006504: DD348108 00083A06
	s_mov_b64 exec, s[36:37]                                   // 00000000650C: BEFE0124
	v_mov_b32_e32 v6, v43                                      // 000000006510: 7E0C032B
	s_mov_b64 s[60:61], 0                                      // 000000006514: BEBC0180
	v_readlane_b32 s82, v3, 2                                  // 000000006518: D2890052 00010503
	s_and_b32 s82, s82, 0xffffff                               // 000000006520: 8652FF52 00FFFFFF
	s_cmp_lt_u32 s82, s66                                      // 000000006528: BF0A4252
	s_cselect_b32 s20, s36, s60                                // 00000000652C: 85143C24
	v_readlane_b32 s82, v3, 3                                  // 000000006530: D2890052 00010703
	s_and_b32 s82, s82, 0xffffff                               // 000000006538: 8652FF52 00FFFFFF
	s_cmp_lt_u32 s82, s66                                      // 000000006540: BF0A4252
	s_cselect_b32 s21, s36, s60                                // 000000006544: 85153C24
	s_mov_b64 exec, s[20:21]                                   // 000000006548: BEFE0114
	global_atomic_add_f32 v6, v55, s[8:9] offset:8             // 00000000654C: DD348008 00083706
	global_atomic_add_f32 v6, v59, s[8:9] offset:264           // 000000006554: DD348108 00083B06
	s_mov_b64 exec, s[36:37]                                   // 00000000655C: BEFE0124
	v_mov_b32_e32 v6, v44                                      // 000000006560: 7E0C032C
	s_mov_b64 s[60:61], 0                                      // 000000006564: BEBC0180
	v_readlane_b32 s82, v3, 4                                  // 000000006568: D2890052 00010903
	s_and_b32 s82, s82, 0xffffff                               // 000000006570: 8652FF52 00FFFFFF
	s_cmp_lt_u32 s82, s66                                      // 000000006578: BF0A4252
	s_cselect_b32 s20, s36, s60                                // 00000000657C: 85143C24
	v_readlane_b32 s82, v3, 5                                  // 000000006580: D2890052 00010B03
	s_and_b32 s82, s82, 0xffffff                               // 000000006588: 8652FF52 00FFFFFF
	s_cmp_lt_u32 s82, s66                                      // 000000006590: BF0A4252
	s_cselect_b32 s21, s36, s60                                // 000000006594: 85153C24
	s_mov_b64 exec, s[20:21]                                   // 000000006598: BEFE0114
	global_atomic_add_f32 v6, v62, s[8:9] offset:8             // 00000000659C: DD348008 00083E06
	global_atomic_add_f32 v6, v66, s[8:9] offset:264           // 0000000065A4: DD348108 00084206
	s_mov_b64 exec, s[36:37]                                   // 0000000065AC: BEFE0124
	v_mov_b32_e32 v6, v45                                      // 0000000065B0: 7E0C032D
	s_mov_b64 s[60:61], 0                                      // 0000000065B4: BEBC0180
	v_readlane_b32 s82, v3, 6                                  // 0000000065B8: D2890052 00010D03
	s_and_b32 s82, s82, 0xffffff                               // 0000000065C0: 8652FF52 00FFFFFF
	s_cmp_lt_u32 s82, s66                                      // 0000000065C8: BF0A4252
	s_cselect_b32 s20, s36, s60                                // 0000000065CC: 85143C24
	v_readlane_b32 s82, v3, 7                                  // 0000000065D0: D2890052 00010F03
	s_and_b32 s82, s82, 0xffffff                               // 0000000065D8: 8652FF52 00FFFFFF
	s_cmp_lt_u32 s82, s66                                      // 0000000065E0: BF0A4252
	s_cselect_b32 s21, s36, s60                                // 0000000065E4: 85153C24
	s_mov_b64 exec, s[20:21]                                   // 0000000065E8: BEFE0114
	global_atomic_add_f32 v6, v63, s[8:9] offset:8             // 0000000065EC: DD348008 00083F06
	global_atomic_add_f32 v6, v67, s[8:9] offset:264           // 0000000065F4: DD348108 00084306
	s_mov_b64 exec, s[36:37]                                   // 0000000065FC: BEFE0124
	v_mov_b32_e32 v6, v46                                      // 000000006600: 7E0C032E
	s_mov_b64 s[60:61], 0                                      // 000000006604: BEBC0180
	v_readlane_b32 s82, v3, 8                                  // 000000006608: D2890052 00011103
	s_and_b32 s82, s82, 0xffffff                               // 000000006610: 8652FF52 00FFFFFF
	s_cmp_lt_u32 s82, s66                                      // 000000006618: BF0A4252
	s_cselect_b32 s20, s36, s60                                // 00000000661C: 85143C24
	v_readlane_b32 s82, v3, 9                                  // 000000006620: D2890052 00011303
	s_and_b32 s82, s82, 0xffffff                               // 000000006628: 8652FF52 00FFFFFF
	s_cmp_lt_u32 s82, s66                                      // 000000006630: BF0A4252
	s_cselect_b32 s21, s36, s60                                // 000000006634: 85153C24
	s_mov_b64 exec, s[20:21]                                   // 000000006638: BEFE0114
	global_atomic_add_f32 v6, v70, s[8:9] offset:8             // 00000000663C: DD348008 00084606
	global_atomic_add_f32 v6, v74, s[8:9] offset:264           // 000000006644: DD348108 00084A06
	s_mov_b64 exec, s[36:37]                                   // 00000000664C: BEFE0124
	v_mov_b32_e32 v6, v47                                      // 000000006650: 7E0C032F
	s_mov_b64 s[60:61], 0                                      // 000000006654: BEBC0180
	v_readlane_b32 s82, v3, 10                                 // 000000006658: D2890052 00011503
	s_and_b32 s82, s82, 0xffffff                               // 000000006660: 8652FF52 00FFFFFF
	s_cmp_lt_u32 s82, s66                                      // 000000006668: BF0A4252
	s_cselect_b32 s20, s36, s60                                // 00000000666C: 85143C24
	v_readlane_b32 s82, v3, 11                                 // 000000006670: D2890052 00011703
	s_and_b32 s82, s82, 0xffffff                               // 000000006678: 8652FF52 00FFFFFF
	s_cmp_lt_u32 s82, s66                                      // 000000006680: BF0A4252
	s_cselect_b32 s21, s36, s60                                // 000000006684: 85153C24
	s_mov_b64 exec, s[20:21]                                   // 000000006688: BEFE0114
	global_atomic_add_f32 v6, v71, s[8:9] offset:8             // 00000000668C: DD348008 00084706
	global_atomic_add_f32 v6, v75, s[8:9] offset:264           // 000000006694: DD348108 00084B06
	s_mov_b64 exec, s[36:37]                                   // 00000000669C: BEFE0124
	ds_write_b64 v20, v[76:77]                                 // 0000000066A0: D89A0000 00004C14
	ds_write_b64 v20, v[80:81] offset:4352                     // 0000000066A8: D89A1100 00005014
	ds_write_b64 v20, v[84:85] offset:8704                     // 0000000066B0: D89A2200 00005414
	ds_write_b64 v20, v[88:89] offset:2176                     // 0000000066B8: D89A0880 00005814
	ds_write_b64 v20, v[92:93] offset:6528                     // 0000000066C0: D89A1980 00005C14
	ds_write_b64 v20, v[96:97] offset:10880                    // 0000000066C8: D89A2A80 00006014
	s_waitcnt lgkmcnt(0)                                       // 0000000066D0: BF8CC07F
	s_barrier                                                  // 0000000066D4: BF8A0000
	ds_read_b32 v76, v21                                       // 0000000066D8: D86C0000 4C000015
	ds_read_b32 v77, v21 offset:64                             // 0000000066E0: D86C0040 4D000015
	ds_read_b32 v80, v21 offset:2176                           // 0000000066E8: D86C0880 50000015
	ds_read_b32 v81, v21 offset:2240                           // 0000000066F0: D86C08C0 51000015
	ds_read_b32 v84, v21 offset:4352                           // 0000000066F8: D86C1100 54000015
	ds_read_b32 v85, v21 offset:4416                           // 000000006700: D86C1140 55000015
	ds_read_b32 v88, v21 offset:6528                           // 000000006708: D86C1980 58000015
	ds_read_b32 v89, v21 offset:6592                           // 000000006710: D86C19C0 59000015
	ds_read_b32 v92, v21 offset:8704                           // 000000006718: D86C2200 5C000015
	ds_read_b32 v93, v21 offset:8768                           // 000000006720: D86C2240 5D000015
	ds_read_b32 v96, v21 offset:10880                          // 000000006728: D86C2A80 60000015
	ds_read_b32 v97, v21 offset:10944                          // 000000006730: D86C2AC0 61000015
	s_mul_i32 s60, s65, 4                                      // 000000006738: 923C8441
	s_add_u32 s8, s60, s8                                      // 00000000673C: 8008083C
	s_addc_u32 s9, 0, s9                                       // 000000006740: 82090980
	s_waitcnt lgkmcnt(0)                                       // 000000006744: BF8CC07F
	v_mov_b32_e32 v7, 0                                        // 000000006748: 7E0E0280
	s_mov_b64 exec, s[36:37]                                   // 00000000674C: BEFE0124
	v_mov_b32_e32 v6, v42                                      // 000000006750: 7E0C032A
	s_mov_b64 s[60:61], 0                                      // 000000006754: BEBC0180
	v_readlane_b32 s82, v3, 0                                  // 000000006758: D2890052 00010103
	s_and_b32 s82, s82, 0xffffff                               // 000000006760: 8652FF52 00FFFFFF
	s_cmp_lt_u32 s82, s66                                      // 000000006768: BF0A4252
	s_cselect_b32 s20, s36, s60                                // 00000000676C: 85143C24
	v_readlane_b32 s82, v3, 1                                  // 000000006770: D2890052 00010303
	s_and_b32 s82, s82, 0xffffff                               // 000000006778: 8652FF52 00FFFFFF
	s_cmp_lt_u32 s82, s66                                      // 000000006780: BF0A4252
	s_cselect_b32 s21, s36, s60                                // 000000006784: 85153C24
	s_mov_b64 exec, s[20:21]                                   // 000000006788: BEFE0114
	global_atomic_add_f32 v6, v76, s[8:9]                      // 00000000678C: DD348000 00084C06
	global_atomic_add_f32 v6, v80, s[8:9] offset:256           // 000000006794: DD348100 00085006
	s_mov_b64 exec, s[36:37]                                   // 00000000679C: BEFE0124
	v_mov_b32_e32 v6, v43                                      // 0000000067A0: 7E0C032B
	s_mov_b64 s[60:61], 0                                      // 0000000067A4: BEBC0180
	v_readlane_b32 s82, v3, 2                                  // 0000000067A8: D2890052 00010503
	s_and_b32 s82, s82, 0xffffff                               // 0000000067B0: 8652FF52 00FFFFFF
	s_cmp_lt_u32 s82, s66                                      // 0000000067B8: BF0A4252
	s_cselect_b32 s20, s36, s60                                // 0000000067BC: 85143C24
	v_readlane_b32 s82, v3, 3                                  // 0000000067C0: D2890052 00010703
	s_and_b32 s82, s82, 0xffffff                               // 0000000067C8: 8652FF52 00FFFFFF
	s_cmp_lt_u32 s82, s66                                      // 0000000067D0: BF0A4252
	s_cselect_b32 s21, s36, s60                                // 0000000067D4: 85153C24
	s_mov_b64 exec, s[20:21]                                   // 0000000067D8: BEFE0114
	global_atomic_add_f32 v6, v77, s[8:9]                      // 0000000067DC: DD348000 00084D06
	global_atomic_add_f32 v6, v81, s[8:9] offset:256           // 0000000067E4: DD348100 00085106
	s_mov_b64 exec, s[36:37]                                   // 0000000067EC: BEFE0124
	v_mov_b32_e32 v6, v44                                      // 0000000067F0: 7E0C032C
	s_mov_b64 s[60:61], 0                                      // 0000000067F4: BEBC0180
	v_readlane_b32 s82, v3, 4                                  // 0000000067F8: D2890052 00010903
	s_and_b32 s82, s82, 0xffffff                               // 000000006800: 8652FF52 00FFFFFF
	s_cmp_lt_u32 s82, s66                                      // 000000006808: BF0A4252
	s_cselect_b32 s20, s36, s60                                // 00000000680C: 85143C24
	v_readlane_b32 s82, v3, 5                                  // 000000006810: D2890052 00010B03
	s_and_b32 s82, s82, 0xffffff                               // 000000006818: 8652FF52 00FFFFFF
	s_cmp_lt_u32 s82, s66                                      // 000000006820: BF0A4252
	s_cselect_b32 s21, s36, s60                                // 000000006824: 85153C24
	s_mov_b64 exec, s[20:21]                                   // 000000006828: BEFE0114
	global_atomic_add_f32 v6, v84, s[8:9]                      // 00000000682C: DD348000 00085406
	global_atomic_add_f32 v6, v88, s[8:9] offset:256           // 000000006834: DD348100 00085806
	s_mov_b64 exec, s[36:37]                                   // 00000000683C: BEFE0124
	v_mov_b32_e32 v6, v45                                      // 000000006840: 7E0C032D
	s_mov_b64 s[60:61], 0                                      // 000000006844: BEBC0180
	v_readlane_b32 s82, v3, 6                                  // 000000006848: D2890052 00010D03
	s_and_b32 s82, s82, 0xffffff                               // 000000006850: 8652FF52 00FFFFFF
	s_cmp_lt_u32 s82, s66                                      // 000000006858: BF0A4252
	s_cselect_b32 s20, s36, s60                                // 00000000685C: 85143C24
	v_readlane_b32 s82, v3, 7                                  // 000000006860: D2890052 00010F03
	s_and_b32 s82, s82, 0xffffff                               // 000000006868: 8652FF52 00FFFFFF
	s_cmp_lt_u32 s82, s66                                      // 000000006870: BF0A4252
	s_cselect_b32 s21, s36, s60                                // 000000006874: 85153C24
	s_mov_b64 exec, s[20:21]                                   // 000000006878: BEFE0114
	global_atomic_add_f32 v6, v85, s[8:9]                      // 00000000687C: DD348000 00085506
	global_atomic_add_f32 v6, v89, s[8:9] offset:256           // 000000006884: DD348100 00085906
	s_mov_b64 exec, s[36:37]                                   // 00000000688C: BEFE0124
	v_mov_b32_e32 v6, v46                                      // 000000006890: 7E0C032E
	s_mov_b64 s[60:61], 0                                      // 000000006894: BEBC0180
	v_readlane_b32 s82, v3, 8                                  // 000000006898: D2890052 00011103
	s_and_b32 s82, s82, 0xffffff                               // 0000000068A0: 8652FF52 00FFFFFF
	s_cmp_lt_u32 s82, s66                                      // 0000000068A8: BF0A4252
	s_cselect_b32 s20, s36, s60                                // 0000000068AC: 85143C24
	v_readlane_b32 s82, v3, 9                                  // 0000000068B0: D2890052 00011303
	s_and_b32 s82, s82, 0xffffff                               // 0000000068B8: 8652FF52 00FFFFFF
	s_cmp_lt_u32 s82, s66                                      // 0000000068C0: BF0A4252
	s_cselect_b32 s21, s36, s60                                // 0000000068C4: 85153C24
	s_mov_b64 exec, s[20:21]                                   // 0000000068C8: BEFE0114
	global_atomic_add_f32 v6, v92, s[8:9]                      // 0000000068CC: DD348000 00085C06
	global_atomic_add_f32 v6, v96, s[8:9] offset:256           // 0000000068D4: DD348100 00086006
	s_mov_b64 exec, s[36:37]                                   // 0000000068DC: BEFE0124
	v_mov_b32_e32 v6, v47                                      // 0000000068E0: 7E0C032F
	s_mov_b64 s[60:61], 0                                      // 0000000068E4: BEBC0180
	v_readlane_b32 s82, v3, 10                                 // 0000000068E8: D2890052 00011503
	s_and_b32 s82, s82, 0xffffff                               // 0000000068F0: 8652FF52 00FFFFFF
	s_cmp_lt_u32 s82, s66                                      // 0000000068F8: BF0A4252
	s_cselect_b32 s20, s36, s60                                // 0000000068FC: 85143C24
	v_readlane_b32 s82, v3, 11                                 // 000000006900: D2890052 00011703
	s_and_b32 s82, s82, 0xffffff                               // 000000006908: 8652FF52 00FFFFFF
	s_cmp_lt_u32 s82, s66                                      // 000000006910: BF0A4252
	s_cselect_b32 s21, s36, s60                                // 000000006914: 85153C24
	s_mov_b64 exec, s[20:21]                                   // 000000006918: BEFE0114
	global_atomic_add_f32 v6, v93, s[8:9]                      // 00000000691C: DD348000 00085D06
	global_atomic_add_f32 v6, v97, s[8:9] offset:256           // 000000006924: DD348100 00086106
	s_mov_b64 exec, s[36:37]                                   // 00000000692C: BEFE0124
	ds_write_b64 v20, v[78:79]                                 // 000000006930: D89A0000 00004E14
	ds_write_b64 v20, v[82:83] offset:4352                     // 000000006938: D89A1100 00005214
	ds_write_b64 v20, v[86:87] offset:8704                     // 000000006940: D89A2200 00005614
	ds_write_b64 v20, v[90:91] offset:2176                     // 000000006948: D89A0880 00005A14
	ds_write_b64 v20, v[94:95] offset:6528                     // 000000006950: D89A1980 00005E14
	ds_write_b64 v20, v[98:99] offset:10880                    // 000000006958: D89A2A80 00006214
	s_waitcnt lgkmcnt(0)                                       // 000000006960: BF8CC07F
	s_barrier                                                  // 000000006964: BF8A0000
	ds_read_b32 v78, v21                                       // 000000006968: D86C0000 4E000015
	ds_read_b32 v79, v21 offset:64                             // 000000006970: D86C0040 4F000015
	ds_read_b32 v82, v21 offset:2176                           // 000000006978: D86C0880 52000015
	ds_read_b32 v83, v21 offset:2240                           // 000000006980: D86C08C0 53000015
	ds_read_b32 v86, v21 offset:4352                           // 000000006988: D86C1100 56000015
	ds_read_b32 v87, v21 offset:4416                           // 000000006990: D86C1140 57000015
	ds_read_b32 v90, v21 offset:6528                           // 000000006998: D86C1980 5A000015
	ds_read_b32 v91, v21 offset:6592                           // 0000000069A0: D86C19C0 5B000015
	ds_read_b32 v94, v21 offset:8704                           // 0000000069A8: D86C2200 5E000015
	ds_read_b32 v95, v21 offset:8768                           // 0000000069B0: D86C2240 5F000015
	ds_read_b32 v98, v21 offset:10880                          // 0000000069B8: D86C2A80 62000015
	ds_read_b32 v99, v21 offset:10944                          // 0000000069C0: D86C2AC0 63000015
	s_waitcnt lgkmcnt(0)                                       // 0000000069C8: BF8CC07F
	v_mov_b32_e32 v7, 0                                        // 0000000069CC: 7E0E0280
	s_mov_b64 exec, s[36:37]                                   // 0000000069D0: BEFE0124
	v_mov_b32_e32 v6, v42                                      // 0000000069D4: 7E0C032A
	s_mov_b64 s[60:61], 0                                      // 0000000069D8: BEBC0180
	v_readlane_b32 s82, v3, 0                                  // 0000000069DC: D2890052 00010103
	s_and_b32 s82, s82, 0xffffff                               // 0000000069E4: 8652FF52 00FFFFFF
	s_cmp_lt_u32 s82, s66                                      // 0000000069EC: BF0A4252
	s_cselect_b32 s20, s36, s60                                // 0000000069F0: 85143C24
	v_readlane_b32 s82, v3, 1                                  // 0000000069F4: D2890052 00010303
	s_and_b32 s82, s82, 0xffffff                               // 0000000069FC: 8652FF52 00FFFFFF
	s_cmp_lt_u32 s82, s66                                      // 000000006A04: BF0A4252
	s_cselect_b32 s21, s36, s60                                // 000000006A08: 85153C24
	s_mov_b64 exec, s[20:21]                                   // 000000006A0C: BEFE0114
	global_atomic_add_f32 v6, v78, s[8:9] offset:8             // 000000006A10: DD348008 00084E06
	global_atomic_add_f32 v6, v82, s[8:9] offset:264           // 000000006A18: DD348108 00085206
	s_mov_b64 exec, s[36:37]                                   // 000000006A20: BEFE0124
	v_mov_b32_e32 v6, v43                                      // 000000006A24: 7E0C032B
	s_mov_b64 s[60:61], 0                                      // 000000006A28: BEBC0180
	v_readlane_b32 s82, v3, 2                                  // 000000006A2C: D2890052 00010503
	s_and_b32 s82, s82, 0xffffff                               // 000000006A34: 8652FF52 00FFFFFF
	s_cmp_lt_u32 s82, s66                                      // 000000006A3C: BF0A4252
	s_cselect_b32 s20, s36, s60                                // 000000006A40: 85143C24
	v_readlane_b32 s82, v3, 3                                  // 000000006A44: D2890052 00010703
	s_and_b32 s82, s82, 0xffffff                               // 000000006A4C: 8652FF52 00FFFFFF
	s_cmp_lt_u32 s82, s66                                      // 000000006A54: BF0A4252
	s_cselect_b32 s21, s36, s60                                // 000000006A58: 85153C24
	s_mov_b64 exec, s[20:21]                                   // 000000006A5C: BEFE0114
	global_atomic_add_f32 v6, v79, s[8:9] offset:8             // 000000006A60: DD348008 00084F06
	global_atomic_add_f32 v6, v83, s[8:9] offset:264           // 000000006A68: DD348108 00085306
	s_mov_b64 exec, s[36:37]                                   // 000000006A70: BEFE0124
	v_mov_b32_e32 v6, v44                                      // 000000006A74: 7E0C032C
	s_mov_b64 s[60:61], 0                                      // 000000006A78: BEBC0180
	v_readlane_b32 s82, v3, 4                                  // 000000006A7C: D2890052 00010903
	s_and_b32 s82, s82, 0xffffff                               // 000000006A84: 8652FF52 00FFFFFF
	s_cmp_lt_u32 s82, s66                                      // 000000006A8C: BF0A4252
	s_cselect_b32 s20, s36, s60                                // 000000006A90: 85143C24
	v_readlane_b32 s82, v3, 5                                  // 000000006A94: D2890052 00010B03
	s_and_b32 s82, s82, 0xffffff                               // 000000006A9C: 8652FF52 00FFFFFF
	s_cmp_lt_u32 s82, s66                                      // 000000006AA4: BF0A4252
	s_cselect_b32 s21, s36, s60                                // 000000006AA8: 85153C24
	s_mov_b64 exec, s[20:21]                                   // 000000006AAC: BEFE0114
	global_atomic_add_f32 v6, v86, s[8:9] offset:8             // 000000006AB0: DD348008 00085606
	global_atomic_add_f32 v6, v90, s[8:9] offset:264           // 000000006AB8: DD348108 00085A06
	s_mov_b64 exec, s[36:37]                                   // 000000006AC0: BEFE0124
	v_mov_b32_e32 v6, v45                                      // 000000006AC4: 7E0C032D
	s_mov_b64 s[60:61], 0                                      // 000000006AC8: BEBC0180
	v_readlane_b32 s82, v3, 6                                  // 000000006ACC: D2890052 00010D03
	s_and_b32 s82, s82, 0xffffff                               // 000000006AD4: 8652FF52 00FFFFFF
	s_cmp_lt_u32 s82, s66                                      // 000000006ADC: BF0A4252
	s_cselect_b32 s20, s36, s60                                // 000000006AE0: 85143C24
	v_readlane_b32 s82, v3, 7                                  // 000000006AE4: D2890052 00010F03
	s_and_b32 s82, s82, 0xffffff                               // 000000006AEC: 8652FF52 00FFFFFF
	s_cmp_lt_u32 s82, s66                                      // 000000006AF4: BF0A4252
	s_cselect_b32 s21, s36, s60                                // 000000006AF8: 85153C24
	s_mov_b64 exec, s[20:21]                                   // 000000006AFC: BEFE0114
	global_atomic_add_f32 v6, v87, s[8:9] offset:8             // 000000006B00: DD348008 00085706
	global_atomic_add_f32 v6, v91, s[8:9] offset:264           // 000000006B08: DD348108 00085B06
	s_mov_b64 exec, s[36:37]                                   // 000000006B10: BEFE0124
	v_mov_b32_e32 v6, v46                                      // 000000006B14: 7E0C032E
	s_mov_b64 s[60:61], 0                                      // 000000006B18: BEBC0180
	v_readlane_b32 s82, v3, 8                                  // 000000006B1C: D2890052 00011103
	s_and_b32 s82, s82, 0xffffff                               // 000000006B24: 8652FF52 00FFFFFF
	s_cmp_lt_u32 s82, s66                                      // 000000006B2C: BF0A4252
	s_cselect_b32 s20, s36, s60                                // 000000006B30: 85143C24
	v_readlane_b32 s82, v3, 9                                  // 000000006B34: D2890052 00011303
	s_and_b32 s82, s82, 0xffffff                               // 000000006B3C: 8652FF52 00FFFFFF
	s_cmp_lt_u32 s82, s66                                      // 000000006B44: BF0A4252
	s_cselect_b32 s21, s36, s60                                // 000000006B48: 85153C24
	s_mov_b64 exec, s[20:21]                                   // 000000006B4C: BEFE0114
	global_atomic_add_f32 v6, v94, s[8:9] offset:8             // 000000006B50: DD348008 00085E06
	global_atomic_add_f32 v6, v98, s[8:9] offset:264           // 000000006B58: DD348108 00086206
	s_mov_b64 exec, s[36:37]                                   // 000000006B60: BEFE0124
	v_mov_b32_e32 v6, v47                                      // 000000006B64: 7E0C032F
	s_mov_b64 s[60:61], 0                                      // 000000006B68: BEBC0180
	v_readlane_b32 s82, v3, 10                                 // 000000006B6C: D2890052 00011503
	s_and_b32 s82, s82, 0xffffff                               // 000000006B74: 8652FF52 00FFFFFF
	s_cmp_lt_u32 s82, s66                                      // 000000006B7C: BF0A4252
	s_cselect_b32 s20, s36, s60                                // 000000006B80: 85143C24
	v_readlane_b32 s82, v3, 11                                 // 000000006B84: D2890052 00011703
	s_and_b32 s82, s82, 0xffffff                               // 000000006B8C: 8652FF52 00FFFFFF
	s_cmp_lt_u32 s82, s66                                      // 000000006B94: BF0A4252
	s_cselect_b32 s21, s36, s60                                // 000000006B98: 85153C24
	s_mov_b64 exec, s[20:21]                                   // 000000006B9C: BEFE0114
	global_atomic_add_f32 v6, v95, s[8:9] offset:8             // 000000006BA0: DD348008 00085F06
	global_atomic_add_f32 v6, v99, s[8:9] offset:264           // 000000006BA8: DD348108 00086306
	s_mov_b64 exec, s[36:37]                                   // 000000006BB0: BEFE0124
	s_branch label_1EAE                                        // 000000006BB4: BF820E3D

0000000000006bb8 <label_1071>:
	s_waitcnt vmcnt(14) lgkmcnt(0)                             // 000000006BB8: BF8C007E
	v_mul_f32_dpp v4, v24, v33 row_newbcast:0 row_mask:0xf bank_mask:0xf// 000000006BBC: 0A0842FA FF015018
	v_mfma_f32_16x16x32_fp8_fp8 v[8:11], a[48:49], a[0:1], 0   // 000000006BC4: D3F30008 1A020130
	buffer_load_dword v25, v22, s[32:35], 0 offen              // 000000006BCC: E0501000 80081916
	buffer_load_dwordx4 a[80:83], v48, s[24:27], 0 offen       // 000000006BD4: E05C1000 80865030
	v_mfma_f32_16x16x32_fp8_fp8 v[8:11], a[50:51], a[2:3], v[8:11]// 000000006BDC: D3F30008 1C220532
	v_mfma_f32_16x16x32_fp8_fp8 v[8:11], a[52:53], a[4:5], v[8:11]// 000000006BE4: D3F30008 1C220934
	v_mfma_f32_16x16x32_fp8_fp8 v[8:11], a[54:55], a[6:7], v[8:11]// 000000006BEC: D3F30008 1C220D36
	v_mfma_f32_16x16x32_fp8_fp8 v[12:15], a[56:57], a[0:1], 0  // 000000006BF4: D3F3000C 1A020138
	buffer_load_dwordx4 a[84:87], v48, s[24:27], 0 offen offset:1024// 000000006BFC: E05C1400 80865430
	v_mfma_f32_16x16x32_fp8_fp8 v[12:15], a[58:59], a[2:3], v[12:15]// 000000006C04: D3F3000C 1C32053A
	v_mfma_f32_16x16x32_fp8_fp8 v[12:15], a[60:61], a[4:5], v[12:15]// 000000006C0C: D3F3000C 1C32093C
	v_mfma_f32_16x16x32_fp8_fp8 v[12:15], a[62:63], a[6:7], v[12:15]// 000000006C14: D3F3000C 1C320D3E
	v_fma_f32 v52, v8, v4, v52                                 // 000000006C1C: D1CB0034 04D20908
	v_fma_f32 v53, v9, v4, v53                                 // 000000006C24: D1CB0035 04D60909
	v_fma_f32 v54, v10, v4, v54                                // 000000006C2C: D1CB0036 04DA090A
	v_fma_f32 v55, v11, v4, v55                                // 000000006C34: D1CB0037 04DE090B
	v_mul_f32_dpp v6, v24, v34 row_newbcast:0 row_mask:0xf bank_mask:0xf// 000000006C3C: 0A0C44FA FF015018
	v_mfma_f32_16x16x32_fp8_fp8 v[8:11], a[48:49], a[8:9], 0   // 000000006C44: D3F30008 1A021130
	buffer_load_dwordx4 a[88:91], v49, s[24:27], 0 offen       // 000000006C4C: E05C1000 80865831
	v_mfma_f32_16x16x32_fp8_fp8 v[8:11], a[50:51], a[10:11], v[8:11]// 000000006C54: D3F30008 1C221532
	v_mfma_f32_16x16x32_fp8_fp8 v[8:11], a[52:53], a[12:13], v[8:11]// 000000006C5C: D3F30008 1C221934
	v_mfma_f32_16x16x32_fp8_fp8 v[8:11], a[54:55], a[14:15], v[8:11]// 000000006C64: D3F30008 1C221D36
	v_fma_f32 v64, v12, v4, v64                                // 000000006C6C: D1CB0040 0502090C
	v_fma_f32 v65, v13, v4, v65                                // 000000006C74: D1CB0041 0506090D
	v_fma_f32 v66, v14, v4, v66                                // 000000006C7C: D1CB0042 050A090E
	v_fma_f32 v67, v15, v4, v67                                // 000000006C84: D1CB0043 050E090F
	v_mfma_f32_16x16x32_fp8_fp8 v[12:15], a[56:57], a[8:9], 0  // 000000006C8C: D3F3000C 1A021138
	buffer_load_dwordx4 a[92:95], v49, s[24:27], 0 offen offset:1024// 000000006C94: E05C1400 80865C31
	buffer_load_dword v42, s[20:23], 0 offen lds               // 000000006C9C: E0511000 8005002A
	s_add_u32 m0, 0x100, s50                                   // 000000006CA4: 807C32FF 00000100
	v_mfma_f32_16x16x32_fp8_fp8 v[12:15], a[58:59], a[10:11], v[12:15]// 000000006CAC: D3F3000C 1C32153A
	v_mfma_f32_16x16x32_fp8_fp8 v[12:15], a[60:61], a[12:13], v[12:15]// 000000006CB4: D3F3000C 1C32193C
	buffer_load_dword v43, s[20:23], 0 offen lds               // 000000006CBC: E0511000 8005002B
	s_add_u32 m0, 0x200, s50                                   // 000000006CC4: 807C32FF 00000200
	v_mfma_f32_16x16x32_fp8_fp8 v[12:15], a[62:63], a[14:15], v[12:15]// 000000006CCC: D3F3000C 1C321D3E
	v_fma_f32 v56, v8, v6, v56                                 // 000000006CD4: D1CB0038 04E20D08
	v_fma_f32 v57, v9, v6, v57                                 // 000000006CDC: D1CB0039 04E60D09
	v_fma_f32 v58, v10, v6, v58                                // 000000006CE4: D1CB003A 04EA0D0A
	v_fma_f32 v59, v11, v6, v59                                // 000000006CEC: D1CB003B 04EE0D0B
	v_mul_f32_dpp v4, v24, v35 row_newbcast:0 row_mask:0xf bank_mask:0xf// 000000006CF4: 0A0846FA FF015018
	v_mfma_f32_16x16x32_fp8_fp8 v[8:11], a[48:49], a[16:17], 0 // 000000006CFC: D3F30008 1A022130
	buffer_load_dword v44, s[20:23], 0 offen lds               // 000000006D04: E0511000 8005002C
	s_add_u32 m0, 0x300, s50                                   // 000000006D0C: 807C32FF 00000300
	v_mfma_f32_16x16x32_fp8_fp8 v[8:11], a[50:51], a[18:19], v[8:11]// 000000006D14: D3F30008 1C222532
	v_mfma_f32_16x16x32_fp8_fp8 v[8:11], a[52:53], a[20:21], v[8:11]// 000000006D1C: D3F30008 1C222934
	buffer_load_dword v45, s[20:23], 0 offen lds               // 000000006D24: E0511000 8005002D
	s_add_u32 m0, 0x400, s50                                   // 000000006D2C: 807C32FF 00000400
	v_mfma_f32_16x16x32_fp8_fp8 v[8:11], a[54:55], a[22:23], v[8:11]// 000000006D34: D3F30008 1C222D36
	v_fma_f32 v68, v12, v6, v68                                // 000000006D3C: D1CB0044 05120D0C
	v_fma_f32 v69, v13, v6, v69                                // 000000006D44: D1CB0045 05160D0D
	v_fma_f32 v70, v14, v6, v70                                // 000000006D4C: D1CB0046 051A0D0E
	v_fma_f32 v71, v15, v6, v71                                // 000000006D54: D1CB0047 051E0D0F
	v_mfma_f32_16x16x32_fp8_fp8 v[12:15], a[56:57], a[16:17], 0// 000000006D5C: D3F3000C 1A022138
	buffer_load_dword v46, s[20:23], 0 offen lds               // 000000006D64: E0511000 8005002E
	s_add_u32 m0, 0x500, s50                                   // 000000006D6C: 807C32FF 00000500
	v_mfma_f32_16x16x32_fp8_fp8 v[12:15], a[58:59], a[18:19], v[12:15]// 000000006D74: D3F3000C 1C32253A
	v_mfma_f32_16x16x32_fp8_fp8 v[12:15], a[60:61], a[20:21], v[12:15]// 000000006D7C: D3F3000C 1C32293C
	buffer_load_dword v47, s[20:23], 0 offen lds               // 000000006D84: E0511000 8005002F
	s_add_u32 m0, 0, s48                                       // 000000006D8C: 807C3080
	v_mfma_f32_16x16x32_fp8_fp8 v[12:15], a[62:63], a[22:23], v[12:15]// 000000006D90: D3F3000C 1C322D3E
	v_fma_f32 v60, v8, v4, v60                                 // 000000006D98: D1CB003C 04F20908
	v_fma_f32 v61, v9, v4, v61                                 // 000000006DA0: D1CB003D 04F60909
	v_fma_f32 v62, v10, v4, v62                                // 000000006DA8: D1CB003E 04FA090A
	v_fma_f32 v63, v11, v4, v63                                // 000000006DB0: D1CB003F 04FE090B
	v_fma_f32 v72, v12, v4, v72                                // 000000006DB8: D1CB0048 0522090C
	v_fma_f32 v73, v13, v4, v73                                // 000000006DC0: D1CB0049 0526090D
	v_fma_f32 v74, v14, v4, v74                                // 000000006DC8: D1CB004A 052A090E
	v_fma_f32 v75, v15, v4, v75                                // 000000006DD0: D1CB004B 052E090F
	buffer_load_dword v39, v30, s[28:31], 0 offen              // 000000006DD8: E0501000 8007271E
	buffer_load_dword v40, v31, s[28:31], 0 offen              // 000000006DE0: E0501000 8007281F
	buffer_load_dword v41, v32, s[28:31], 0 offen              // 000000006DE8: E0501000 80072920
	s_waitcnt vmcnt(14)                                        // 000000006DF0: BF8C0F7E
	s_barrier                                                  // 000000006DF4: BF8A0000
	v_mul_f32_dpp v4, v27, v33 row_newbcast:0 row_mask:0xf bank_mask:0xf// 000000006DF8: 0A0842FA FF01501B
	v_mfma_f32_16x16x32_fp8_fp8 v[8:11], a[64:65], a[0:1], 0   // 000000006E00: D3F30008 1A020140
	buffer_load_dword v28, v23, s[32:35], 0 offen              // 000000006E08: E0501000 80081C17
	buffer_load_dwordx4 a[48:51], v48, s[84:87], 0 offen       // 000000006E10: E05C1000 80953030
	v_mfma_f32_16x16x32_fp8_fp8 v[8:11], a[66:67], a[2:3], v[8:11]// 000000006E18: D3F30008 1C220542
	v_mfma_f32_16x16x32_fp8_fp8 v[8:11], a[68:69], a[4:5], v[8:11]// 000000006E20: D3F30008 1C220944
	ds_read_b128 a[24:27], v2 offset:6272                      // 000000006E28: DBFE1880 18000002
	ds_read_b128 a[28:31], v2 offset:6336                      // 000000006E30: DBFE18C0 1C000002
	v_mfma_f32_16x16x32_fp8_fp8 v[8:11], a[70:71], a[6:7], v[8:11]// 000000006E38: D3F30008 1C220D46
	v_mfma_f32_16x16x32_fp8_fp8 v[12:15], a[72:73], a[0:1], 0  // 000000006E40: D3F3000C 1A020148
	buffer_load_dwordx4 a[52:55], v48, s[84:87], 0 offen offset:1024// 000000006E48: E05C1400 80953430
	v_mfma_f32_16x16x32_fp8_fp8 v[12:15], a[74:75], a[2:3], v[12:15]// 000000006E50: D3F3000C 1C32054A
	v_mfma_f32_16x16x32_fp8_fp8 v[12:15], a[76:77], a[4:5], v[12:15]// 000000006E58: D3F3000C 1C32094C
	ds_read_b128 a[32:35], v2 offset:6784                      // 000000006E60: DBFE1A80 20000002
	ds_read_b128 a[36:39], v2 offset:6848                      // 000000006E68: DBFE1AC0 24000002
	v_mfma_f32_16x16x32_fp8_fp8 v[12:15], a[78:79], a[6:7], v[12:15]// 000000006E70: D3F3000C 1C320D4E
	v_fma_f32 v76, v8, v4, v76                                 // 000000006E78: D1CB004C 05320908
	v_fma_f32 v77, v9, v4, v77                                 // 000000006E80: D1CB004D 05360909
	v_fma_f32 v78, v10, v4, v78                                // 000000006E88: D1CB004E 053A090A
	v_fma_f32 v79, v11, v4, v79                                // 000000006E90: D1CB004F 053E090B
	v_mul_f32_dpp v6, v27, v34 row_newbcast:0 row_mask:0xf bank_mask:0xf// 000000006E98: 0A0C44FA FF01501B
	v_mfma_f32_16x16x32_fp8_fp8 v[8:11], a[64:65], a[8:9], 0   // 000000006EA0: D3F30008 1A021140
	buffer_load_dwordx4 a[56:59], v49, s[84:87], 0 offen       // 000000006EA8: E05C1000 80953831
	v_mfma_f32_16x16x32_fp8_fp8 v[8:11], a[66:67], a[10:11], v[8:11]// 000000006EB0: D3F30008 1C221542
	v_mfma_f32_16x16x32_fp8_fp8 v[8:11], a[68:69], a[12:13], v[8:11]// 000000006EB8: D3F30008 1C221944
	ds_read_b128 a[40:43], v2 offset:7296                      // 000000006EC0: DBFE1C80 28000002
	ds_read_b128 a[44:47], v2 offset:7360                      // 000000006EC8: DBFE1CC0 2C000002
	v_mfma_f32_16x16x32_fp8_fp8 v[8:11], a[70:71], a[14:15], v[8:11]// 000000006ED0: D3F30008 1C221D46
	v_fma_f32 v88, v12, v4, v88                                // 000000006ED8: D1CB0058 0562090C
	v_fma_f32 v89, v13, v4, v89                                // 000000006EE0: D1CB0059 0566090D
	v_fma_f32 v90, v14, v4, v90                                // 000000006EE8: D1CB005A 056A090E
	v_fma_f32 v91, v15, v4, v91                                // 000000006EF0: D1CB005B 056E090F
	v_mfma_f32_16x16x32_fp8_fp8 v[12:15], a[72:73], a[8:9], 0  // 000000006EF8: D3F3000C 1A021148
	buffer_load_dwordx4 a[60:63], v49, s[84:87], 0 offen offset:1024// 000000006F00: E05C1400 80953C31
	v_mfma_f32_16x16x32_fp8_fp8 v[12:15], a[74:75], a[10:11], v[12:15]// 000000006F08: D3F3000C 1C32154A
	v_mfma_f32_16x16x32_fp8_fp8 v[12:15], a[76:77], a[12:13], v[12:15]// 000000006F10: D3F3000C 1C32194C
	v_mfma_f32_16x16x32_fp8_fp8 v[12:15], a[78:79], a[14:15], v[12:15]// 000000006F18: D3F3000C 1C321D4E
	v_fma_f32 v80, v8, v6, v80                                 // 000000006F20: D1CB0050 05420D08
	v_fma_f32 v81, v9, v6, v81                                 // 000000006F28: D1CB0051 05460D09
	v_fma_f32 v82, v10, v6, v82                                // 000000006F30: D1CB0052 054A0D0A
	v_fma_f32 v83, v11, v6, v83                                // 000000006F38: D1CB0053 054E0D0B
	v_mul_f32_dpp v4, v27, v35 row_newbcast:0 row_mask:0xf bank_mask:0xf// 000000006F40: 0A0846FA FF01501B
	v_mfma_f32_16x16x32_fp8_fp8 v[8:11], a[64:65], a[16:17], 0 // 000000006F48: D3F30008 1A022140
	s_add_u32 s60, 0x180, s80                                  // 000000006F50: 803C50FF 00000180
	s_cmp_lt_u32 s60, s81                                      // 000000006F58: BF0A513C
	s_cselect_b32 s57, s57, 0                                  // 000000006F5C: 85398039
	s_cselect_b32 s3, s3, 0                                    // 000000006F60: 85038003
	v_mfma_f32_16x16x32_fp8_fp8 v[8:11], a[66:67], a[18:19], v[8:11]// 000000006F64: D3F30008 1C222542
	s_add_u32 s60, 0x100, s80                                  // 000000006F6C: 803C50FF 00000100
	s_cmp_lt_u32 s60, s81                                      // 000000006F74: BF0A513C
	s_cselect_b32 s58, s58, 0                                  // 000000006F78: 853A803A
	v_mfma_f32_16x16x32_fp8_fp8 v[8:11], a[68:69], a[20:21], v[8:11]// 000000006F7C: D3F30008 1C222944
	s_add_u32 s60, 0x100, s80                                  // 000000006F84: 803C50FF 00000100
	s_cmp_lt_u32 s60, s81                                      // 000000006F8C: BF0A513C
	s_cselect_b32 s83, s83, 0                                  // 000000006F90: 85538053
	s_cselect_b32 s4, s4, 0                                    // 000000006F94: 85048004
	v_mfma_f32_16x16x32_fp8_fp8 v[8:11], a[70:71], a[22:23], v[8:11]// 000000006F98: D3F30008 1C222D46
	s_add_u32 s24, s58, s24                                    // 000000006FA0: 8018183A
	s_addc_u32 s25, 0, s25                                     // 000000006FA4: 82191980
	v_fma_f32 v92, v12, v6, v92                                // 000000006FA8: D1CB005C 05720D0C
	v_fma_f32 v93, v13, v6, v93                                // 000000006FB0: D1CB005D 05760D0D
	v_fma_f32 v94, v14, v6, v94                                // 000000006FB8: D1CB005E 057A0D0E
	v_fma_f32 v95, v15, v6, v95                                // 000000006FC0: D1CB005F 057E0D0F
	v_mfma_f32_16x16x32_fp8_fp8 v[12:15], a[72:73], a[16:17], 0// 000000006FC8: D3F3000C 1A022148
	s_add_u32 s20, s57, s20                                    // 000000006FD0: 80141439
	s_addc_u32 s21, 0, s21                                     // 000000006FD4: 82151580
	s_add_u32 s28, s3, s28                                     // 000000006FD8: 801C1C03
	s_addc_u32 s29, 0, s29                                     // 000000006FDC: 821D1D80
	v_mfma_f32_16x16x32_fp8_fp8 v[12:15], a[74:75], a[18:19], v[12:15]// 000000006FE0: D3F3000C 1C32254A
	s_add_u32 s84, s83, s84                                    // 000000006FE8: 80545453
	s_addc_u32 s85, 0, s85                                     // 000000006FEC: 82555580
	v_mfma_f32_16x16x32_fp8_fp8 v[12:15], a[76:77], a[20:21], v[12:15]// 000000006FF0: D3F3000C 1C32294C
	s_add_u32 s32, s4, s32                                     // 000000006FF8: 80202004
	s_addc_u32 s33, 0, s33                                     // 000000006FFC: 82212180
	v_mfma_f32_16x16x32_fp8_fp8 v[12:15], a[78:79], a[22:23], v[12:15]// 000000007000: D3F3000C 1C322D4E
	v_fma_f32 v84, v8, v4, v84                                 // 000000007008: D1CB0054 05520908
	v_fma_f32 v85, v9, v4, v85                                 // 000000007010: D1CB0055 05560909
	v_fma_f32 v86, v10, v4, v86                                // 000000007018: D1CB0056 055A090A
	v_fma_f32 v87, v11, v4, v87                                // 000000007020: D1CB0057 055E090B
	v_fma_f32 v96, v12, v4, v96                                // 000000007028: D1CB0060 0582090C
	v_fma_f32 v97, v13, v4, v97                                // 000000007030: D1CB0061 0586090D
	v_fma_f32 v98, v14, v4, v98                                // 000000007038: D1CB0062 058A090E
	v_fma_f32 v99, v15, v4, v99                                // 000000007040: D1CB0063 058E090F
	s_addk_i32 s80, 0x80                                       // 000000007048: B7500080
	s_cmp_lt_i32 s80, s81                                      // 00000000704C: BF045150
	s_cbranch_scc0 label_175C                                  // 000000007050: BF8405C4
	s_waitcnt vmcnt(14) lgkmcnt(0)                             // 000000007054: BF8C007E
	v_mul_f32_dpp v4, v25, v36 row_newbcast:0 row_mask:0xf bank_mask:0xf// 000000007058: 0A0848FA FF015019
	v_mfma_f32_16x16x32_fp8_fp8 v[8:11], a[80:81], a[24:25], 0 // 000000007060: D3F30008 1A023150
	buffer_load_dword v26, v22, s[32:35], 0 offen              // 000000007068: E0501000 80081A16
	buffer_load_dwordx4 a[64:67], v48, s[24:27], 0 offen       // 000000007070: E05C1000 80864030
	v_mfma_f32_16x16x32_fp8_fp8 v[8:11], a[82:83], a[26:27], v[8:11]// 000000007078: D3F30008 1C223552
	v_mfma_f32_16x16x32_fp8_fp8 v[8:11], a[84:85], a[28:29], v[8:11]// 000000007080: D3F30008 1C223954
	v_mfma_f32_16x16x32_fp8_fp8 v[8:11], a[86:87], a[30:31], v[8:11]// 000000007088: D3F30008 1C223D56
	v_mfma_f32_16x16x32_fp8_fp8 v[12:15], a[88:89], a[24:25], 0// 000000007090: D3F3000C 1A023158
	buffer_load_dwordx4 a[68:71], v48, s[24:27], 0 offen offset:1024// 000000007098: E05C1400 80864430
	v_mfma_f32_16x16x32_fp8_fp8 v[12:15], a[90:91], a[26:27], v[12:15]// 0000000070A0: D3F3000C 1C32355A
	v_mfma_f32_16x16x32_fp8_fp8 v[12:15], a[92:93], a[28:29], v[12:15]// 0000000070A8: D3F3000C 1C32395C
	v_mfma_f32_16x16x32_fp8_fp8 v[12:15], a[94:95], a[30:31], v[12:15]// 0000000070B0: D3F3000C 1C323D5E
	v_fma_f32 v52, v8, v4, v52                                 // 0000000070B8: D1CB0034 04D20908
	v_fma_f32 v53, v9, v4, v53                                 // 0000000070C0: D1CB0035 04D60909
	v_fma_f32 v54, v10, v4, v54                                // 0000000070C8: D1CB0036 04DA090A
	v_fma_f32 v55, v11, v4, v55                                // 0000000070D0: D1CB0037 04DE090B
	v_mul_f32_dpp v6, v25, v37 row_newbcast:0 row_mask:0xf bank_mask:0xf// 0000000070D8: 0A0C4AFA FF015019
	v_mfma_f32_16x16x32_fp8_fp8 v[8:11], a[80:81], a[32:33], 0 // 0000000070E0: D3F30008 1A024150
	buffer_load_dwordx4 a[72:75], v49, s[24:27], 0 offen       // 0000000070E8: E05C1000 80864831
	v_mfma_f32_16x16x32_fp8_fp8 v[8:11], a[82:83], a[34:35], v[8:11]// 0000000070F0: D3F30008 1C224552
	v_mfma_f32_16x16x32_fp8_fp8 v[8:11], a[84:85], a[36:37], v[8:11]// 0000000070F8: D3F30008 1C224954
	v_mfma_f32_16x16x32_fp8_fp8 v[8:11], a[86:87], a[38:39], v[8:11]// 000000007100: D3F30008 1C224D56
	v_fma_f32 v64, v12, v4, v64                                // 000000007108: D1CB0040 0502090C
	v_fma_f32 v65, v13, v4, v65                                // 000000007110: D1CB0041 0506090D
	v_fma_f32 v66, v14, v4, v66                                // 000000007118: D1CB0042 050A090E
	v_fma_f32 v67, v15, v4, v67                                // 000000007120: D1CB0043 050E090F
	v_mfma_f32_16x16x32_fp8_fp8 v[12:15], a[88:89], a[32:33], 0// 000000007128: D3F3000C 1A024158
	buffer_load_dwordx4 a[76:79], v49, s[24:27], 0 offen offset:1024// 000000007130: E05C1400 80864C31
	buffer_load_dword v42, s[20:23], 0 offen lds               // 000000007138: E0511000 8005002A
	s_add_u32 m0, 0x100, s48                                   // 000000007140: 807C30FF 00000100
	v_mfma_f32_16x16x32_fp8_fp8 v[12:15], a[90:91], a[34:35], v[12:15]// 000000007148: D3F3000C 1C32455A
	v_mfma_f32_16x16x32_fp8_fp8 v[12:15], a[92:93], a[36:37], v[12:15]// 000000007150: D3F3000C 1C32495C
	buffer_load_dword v43, s[20:23], 0 offen lds               // 000000007158: E0511000 8005002B
	s_add_u32 m0, 0x200, s48                                   // 000000007160: 807C30FF 00000200
	v_mfma_f32_16x16x32_fp8_fp8 v[12:15], a[94:95], a[38:39], v[12:15]// 000000007168: D3F3000C 1C324D5E
	v_fma_f32 v56, v8, v6, v56                                 // 000000007170: D1CB0038 04E20D08
	v_fma_f32 v57, v9, v6, v57                                 // 000000007178: D1CB0039 04E60D09
	v_fma_f32 v58, v10, v6, v58                                // 000000007180: D1CB003A 04EA0D0A
	v_fma_f32 v59, v11, v6, v59                                // 000000007188: D1CB003B 04EE0D0B
	v_mul_f32_dpp v4, v25, v38 row_newbcast:0 row_mask:0xf bank_mask:0xf// 000000007190: 0A084CFA FF015019
	v_mfma_f32_16x16x32_fp8_fp8 v[8:11], a[80:81], a[40:41], 0 // 000000007198: D3F30008 1A025150
	buffer_load_dword v44, s[20:23], 0 offen lds               // 0000000071A0: E0511000 8005002C
	s_add_u32 m0, 0x300, s48                                   // 0000000071A8: 807C30FF 00000300
	v_mfma_f32_16x16x32_fp8_fp8 v[8:11], a[82:83], a[42:43], v[8:11]// 0000000071B0: D3F30008 1C225552
	v_mfma_f32_16x16x32_fp8_fp8 v[8:11], a[84:85], a[44:45], v[8:11]// 0000000071B8: D3F30008 1C225954
	buffer_load_dword v45, s[20:23], 0 offen lds               // 0000000071C0: E0511000 8005002D
	s_add_u32 m0, 0x400, s48                                   // 0000000071C8: 807C30FF 00000400
	v_mfma_f32_16x16x32_fp8_fp8 v[8:11], a[86:87], a[46:47], v[8:11]// 0000000071D0: D3F30008 1C225D56
	v_fma_f32 v68, v12, v6, v68                                // 0000000071D8: D1CB0044 05120D0C
	v_fma_f32 v69, v13, v6, v69                                // 0000000071E0: D1CB0045 05160D0D
	v_fma_f32 v70, v14, v6, v70                                // 0000000071E8: D1CB0046 051A0D0E
	v_fma_f32 v71, v15, v6, v71                                // 0000000071F0: D1CB0047 051E0D0F
	v_mfma_f32_16x16x32_fp8_fp8 v[12:15], a[88:89], a[40:41], 0// 0000000071F8: D3F3000C 1A025158
	buffer_load_dword v46, s[20:23], 0 offen lds               // 000000007200: E0511000 8005002E
	s_add_u32 m0, 0x500, s48                                   // 000000007208: 807C30FF 00000500
	v_mfma_f32_16x16x32_fp8_fp8 v[12:15], a[90:91], a[42:43], v[12:15]// 000000007210: D3F3000C 1C32555A
	v_mfma_f32_16x16x32_fp8_fp8 v[12:15], a[92:93], a[44:45], v[12:15]// 000000007218: D3F3000C 1C32595C
	buffer_load_dword v47, s[20:23], 0 offen lds               // 000000007220: E0511000 8005002F
	s_add_u32 m0, 0, s49                                       // 000000007228: 807C3180
	v_mfma_f32_16x16x32_fp8_fp8 v[12:15], a[94:95], a[46:47], v[12:15]// 00000000722C: D3F3000C 1C325D5E
	v_fma_f32 v60, v8, v4, v60                                 // 000000007234: D1CB003C 04F20908
	v_fma_f32 v61, v9, v4, v61                                 // 00000000723C: D1CB003D 04F60909
	v_fma_f32 v62, v10, v4, v62                                // 000000007244: D1CB003E 04FA090A
	v_fma_f32 v63, v11, v4, v63                                // 00000000724C: D1CB003F 04FE090B
	v_fma_f32 v72, v12, v4, v72                                // 000000007254: D1CB0048 0522090C
	v_fma_f32 v73, v13, v4, v73                                // 00000000725C: D1CB0049 0526090D
	v_fma_f32 v74, v14, v4, v74                                // 000000007264: D1CB004A 052A090E
	v_fma_f32 v75, v15, v4, v75                                // 00000000726C: D1CB004B 052E090F
	buffer_load_dword v33, v30, s[28:31], 0 offen              // 000000007274: E0501000 8007211E
	buffer_load_dword v34, v31, s[28:31], 0 offen              // 00000000727C: E0501000 8007221F
	buffer_load_dword v35, v32, s[28:31], 0 offen              // 000000007284: E0501000 80072320
	s_waitcnt vmcnt(14)                                        // 00000000728C: BF8C0F7E
	s_barrier                                                  // 000000007290: BF8A0000
	v_mul_f32_dpp v4, v28, v36 row_newbcast:0 row_mask:0xf bank_mask:0xf// 000000007294: 0A0848FA FF01501C
	v_mfma_f32_16x16x32_fp8_fp8 v[8:11], a[48:49], a[24:25], 0 // 00000000729C: D3F30008 1A023130
	buffer_load_dword v29, v23, s[32:35], 0 offen              // 0000000072A4: E0501000 80081D17
	buffer_load_dwordx4 a[80:83], v48, s[84:87], 0 offen       // 0000000072AC: E05C1000 80955030
	v_mfma_f32_16x16x32_fp8_fp8 v[8:11], a[50:51], a[26:27], v[8:11]// 0000000072B4: D3F30008 1C223532
	v_mfma_f32_16x16x32_fp8_fp8 v[8:11], a[52:53], a[28:29], v[8:11]// 0000000072BC: D3F30008 1C223934
	ds_read_b128 a[0:3], v2 offset:12544                       // 0000000072C4: DBFE3100 00000002
	ds_read_b128 a[4:7], v2 offset:12608                       // 0000000072CC: DBFE3140 04000002
	v_mfma_f32_16x16x32_fp8_fp8 v[8:11], a[54:55], a[30:31], v[8:11]// 0000000072D4: D3F30008 1C223D36
	v_mfma_f32_16x16x32_fp8_fp8 v[12:15], a[56:57], a[24:25], 0// 0000000072DC: D3F3000C 1A023138
	buffer_load_dwordx4 a[84:87], v48, s[84:87], 0 offen offset:1024// 0000000072E4: E05C1400 80955430
	v_mfma_f32_16x16x32_fp8_fp8 v[12:15], a[58:59], a[26:27], v[12:15]// 0000000072EC: D3F3000C 1C32353A
	v_mfma_f32_16x16x32_fp8_fp8 v[12:15], a[60:61], a[28:29], v[12:15]// 0000000072F4: D3F3000C 1C32393C
	ds_read_b128 a[8:11], v2 offset:13056                      // 0000000072FC: DBFE3300 08000002
	ds_read_b128 a[12:15], v2 offset:13120                     // 000000007304: DBFE3340 0C000002
	v_mfma_f32_16x16x32_fp8_fp8 v[12:15], a[62:63], a[30:31], v[12:15]// 00000000730C: D3F3000C 1C323D3E
	v_fma_f32 v76, v8, v4, v76                                 // 000000007314: D1CB004C 05320908
	v_fma_f32 v77, v9, v4, v77                                 // 00000000731C: D1CB004D 05360909
	v_fma_f32 v78, v10, v4, v78                                // 000000007324: D1CB004E 053A090A
	v_fma_f32 v79, v11, v4, v79                                // 00000000732C: D1CB004F 053E090B
	v_mul_f32_dpp v6, v28, v37 row_newbcast:0 row_mask:0xf bank_mask:0xf// 000000007334: 0A0C4AFA FF01501C
	v_mfma_f32_16x16x32_fp8_fp8 v[8:11], a[48:49], a[32:33], 0 // 00000000733C: D3F30008 1A024130
	buffer_load_dwordx4 a[88:91], v49, s[84:87], 0 offen       // 000000007344: E05C1000 80955831
	v_mfma_f32_16x16x32_fp8_fp8 v[8:11], a[50:51], a[34:35], v[8:11]// 00000000734C: D3F30008 1C224532
	v_mfma_f32_16x16x32_fp8_fp8 v[8:11], a[52:53], a[36:37], v[8:11]// 000000007354: D3F30008 1C224934
	ds_read_b128 a[16:19], v2 offset:13568                     // 00000000735C: DBFE3500 10000002
	ds_read_b128 a[20:23], v2 offset:13632                     // 000000007364: DBFE3540 14000002
	v_mfma_f32_16x16x32_fp8_fp8 v[8:11], a[54:55], a[38:39], v[8:11]// 00000000736C: D3F30008 1C224D36
	v_fma_f32 v88, v12, v4, v88                                // 000000007374: D1CB0058 0562090C
	v_fma_f32 v89, v13, v4, v89                                // 00000000737C: D1CB0059 0566090D
	v_fma_f32 v90, v14, v4, v90                                // 000000007384: D1CB005A 056A090E
	v_fma_f32 v91, v15, v4, v91                                // 00000000738C: D1CB005B 056E090F
	v_mfma_f32_16x16x32_fp8_fp8 v[12:15], a[56:57], a[32:33], 0// 000000007394: D3F3000C 1A024138
	buffer_load_dwordx4 a[92:95], v49, s[84:87], 0 offen offset:1024// 00000000739C: E05C1400 80955C31
	v_mfma_f32_16x16x32_fp8_fp8 v[12:15], a[58:59], a[34:35], v[12:15]// 0000000073A4: D3F3000C 1C32453A
	v_mfma_f32_16x16x32_fp8_fp8 v[12:15], a[60:61], a[36:37], v[12:15]// 0000000073AC: D3F3000C 1C32493C
	v_mfma_f32_16x16x32_fp8_fp8 v[12:15], a[62:63], a[38:39], v[12:15]// 0000000073B4: D3F3000C 1C324D3E
	v_fma_f32 v80, v8, v6, v80                                 // 0000000073BC: D1CB0050 05420D08
	v_fma_f32 v81, v9, v6, v81                                 // 0000000073C4: D1CB0051 05460D09
	v_fma_f32 v82, v10, v6, v82                                // 0000000073CC: D1CB0052 054A0D0A
	v_fma_f32 v83, v11, v6, v83                                // 0000000073D4: D1CB0053 054E0D0B
	v_mul_f32_dpp v4, v28, v38 row_newbcast:0 row_mask:0xf bank_mask:0xf// 0000000073DC: 0A084CFA FF01501C
	v_mfma_f32_16x16x32_fp8_fp8 v[8:11], a[48:49], a[40:41], 0 // 0000000073E4: D3F30008 1A025130
	s_add_u32 s60, 0x180, s80                                  // 0000000073EC: 803C50FF 00000180
	s_cmp_lt_u32 s60, s81                                      // 0000000073F4: BF0A513C
	s_cselect_b32 s57, s57, 0                                  // 0000000073F8: 85398039
	s_cselect_b32 s3, s3, 0                                    // 0000000073FC: 85038003
	v_mfma_f32_16x16x32_fp8_fp8 v[8:11], a[50:51], a[42:43], v[8:11]// 000000007400: D3F30008 1C225532
	s_add_u32 s60, 0x100, s80                                  // 000000007408: 803C50FF 00000100
	s_cmp_lt_u32 s60, s81                                      // 000000007410: BF0A513C
	s_cselect_b32 s58, s58, 0                                  // 000000007414: 853A803A
	v_mfma_f32_16x16x32_fp8_fp8 v[8:11], a[52:53], a[44:45], v[8:11]// 000000007418: D3F30008 1C225934
	s_add_u32 s60, 0x100, s80                                  // 000000007420: 803C50FF 00000100
	s_cmp_lt_u32 s60, s81                                      // 000000007428: BF0A513C
	s_cselect_b32 s83, s83, 0                                  // 00000000742C: 85538053
	s_cselect_b32 s4, s4, 0                                    // 000000007430: 85048004
	v_mfma_f32_16x16x32_fp8_fp8 v[8:11], a[54:55], a[46:47], v[8:11]// 000000007434: D3F30008 1C225D36
	s_add_u32 s24, s58, s24                                    // 00000000743C: 8018183A
	s_addc_u32 s25, 0, s25                                     // 000000007440: 82191980
	v_fma_f32 v92, v12, v6, v92                                // 000000007444: D1CB005C 05720D0C
	v_fma_f32 v93, v13, v6, v93                                // 00000000744C: D1CB005D 05760D0D
	v_fma_f32 v94, v14, v6, v94                                // 000000007454: D1CB005E 057A0D0E
	v_fma_f32 v95, v15, v6, v95                                // 00000000745C: D1CB005F 057E0D0F
	v_mfma_f32_16x16x32_fp8_fp8 v[12:15], a[56:57], a[40:41], 0// 000000007464: D3F3000C 1A025138
	s_add_u32 s20, s57, s20                                    // 00000000746C: 80141439
	s_addc_u32 s21, 0, s21                                     // 000000007470: 82151580
	s_add_u32 s28, s3, s28                                     // 000000007474: 801C1C03
	s_addc_u32 s29, 0, s29                                     // 000000007478: 821D1D80
	v_mfma_f32_16x16x32_fp8_fp8 v[12:15], a[58:59], a[42:43], v[12:15]// 00000000747C: D3F3000C 1C32553A
	s_add_u32 s84, s83, s84                                    // 000000007484: 80545453
	s_addc_u32 s85, 0, s85                                     // 000000007488: 82555580
	v_mfma_f32_16x16x32_fp8_fp8 v[12:15], a[60:61], a[44:45], v[12:15]// 00000000748C: D3F3000C 1C32593C
	s_add_u32 s32, s4, s32                                     // 000000007494: 80202004
	s_addc_u32 s33, 0, s33                                     // 000000007498: 82212180
	v_mfma_f32_16x16x32_fp8_fp8 v[12:15], a[62:63], a[46:47], v[12:15]// 00000000749C: D3F3000C 1C325D3E
	v_fma_f32 v84, v8, v4, v84                                 // 0000000074A4: D1CB0054 05520908
	v_fma_f32 v85, v9, v4, v85                                 // 0000000074AC: D1CB0055 05560909
	v_fma_f32 v86, v10, v4, v86                                // 0000000074B4: D1CB0056 055A090A
	v_fma_f32 v87, v11, v4, v87                                // 0000000074BC: D1CB0057 055E090B
	v_fma_f32 v96, v12, v4, v96                                // 0000000074C4: D1CB0060 0582090C
	v_fma_f32 v97, v13, v4, v97                                // 0000000074CC: D1CB0061 0586090D
	v_fma_f32 v98, v14, v4, v98                                // 0000000074D4: D1CB0062 058A090E
	v_fma_f32 v99, v15, v4, v99                                // 0000000074DC: D1CB0063 058E090F
	s_addk_i32 s80, 0x80                                       // 0000000074E4: B7500080
	s_cmp_lt_i32 s80, s81                                      // 0000000074E8: BF045150
	s_cbranch_scc0 label_175C                                  // 0000000074EC: BF84049D
	s_waitcnt vmcnt(14) lgkmcnt(0)                             // 0000000074F0: BF8C007E
	v_mul_f32_dpp v4, v26, v39 row_newbcast:0 row_mask:0xf bank_mask:0xf// 0000000074F4: 0A084EFA FF01501A
	v_mfma_f32_16x16x32_fp8_fp8 v[8:11], a[64:65], a[0:1], 0   // 0000000074FC: D3F30008 1A020140
	buffer_load_dword v24, v22, s[32:35], 0 offen              // 000000007504: E0501000 80081816
	buffer_load_dwordx4 a[48:51], v48, s[24:27], 0 offen       // 00000000750C: E05C1000 80863030
	v_mfma_f32_16x16x32_fp8_fp8 v[8:11], a[66:67], a[2:3], v[8:11]// 000000007514: D3F30008 1C220542
	v_mfma_f32_16x16x32_fp8_fp8 v[8:11], a[68:69], a[4:5], v[8:11]// 00000000751C: D3F30008 1C220944
	v_mfma_f32_16x16x32_fp8_fp8 v[8:11], a[70:71], a[6:7], v[8:11]// 000000007524: D3F30008 1C220D46
	v_mfma_f32_16x16x32_fp8_fp8 v[12:15], a[72:73], a[0:1], 0  // 00000000752C: D3F3000C 1A020148
	buffer_load_dwordx4 a[52:55], v48, s[24:27], 0 offen offset:1024// 000000007534: E05C1400 80863430
	v_mfma_f32_16x16x32_fp8_fp8 v[12:15], a[74:75], a[2:3], v[12:15]// 00000000753C: D3F3000C 1C32054A
	v_mfma_f32_16x16x32_fp8_fp8 v[12:15], a[76:77], a[4:5], v[12:15]// 000000007544: D3F3000C 1C32094C
	v_mfma_f32_16x16x32_fp8_fp8 v[12:15], a[78:79], a[6:7], v[12:15]// 00000000754C: D3F3000C 1C320D4E
	v_fma_f32 v52, v8, v4, v52                                 // 000000007554: D1CB0034 04D20908
	v_fma_f32 v53, v9, v4, v53                                 // 00000000755C: D1CB0035 04D60909
	v_fma_f32 v54, v10, v4, v54                                // 000000007564: D1CB0036 04DA090A
	v_fma_f32 v55, v11, v4, v55                                // 00000000756C: D1CB0037 04DE090B
	v_mul_f32_dpp v6, v26, v40 row_newbcast:0 row_mask:0xf bank_mask:0xf// 000000007574: 0A0C50FA FF01501A
	v_mfma_f32_16x16x32_fp8_fp8 v[8:11], a[64:65], a[8:9], 0   // 00000000757C: D3F30008 1A021140
	buffer_load_dwordx4 a[56:59], v49, s[24:27], 0 offen       // 000000007584: E05C1000 80863831
	v_mfma_f32_16x16x32_fp8_fp8 v[8:11], a[66:67], a[10:11], v[8:11]// 00000000758C: D3F30008 1C221542
	v_mfma_f32_16x16x32_fp8_fp8 v[8:11], a[68:69], a[12:13], v[8:11]// 000000007594: D3F30008 1C221944
	v_mfma_f32_16x16x32_fp8_fp8 v[8:11], a[70:71], a[14:15], v[8:11]// 00000000759C: D3F30008 1C221D46
	v_fma_f32 v64, v12, v4, v64                                // 0000000075A4: D1CB0040 0502090C
	v_fma_f32 v65, v13, v4, v65                                // 0000000075AC: D1CB0041 0506090D
	v_fma_f32 v66, v14, v4, v66                                // 0000000075B4: D1CB0042 050A090E
	v_fma_f32 v67, v15, v4, v67                                // 0000000075BC: D1CB0043 050E090F
	v_mfma_f32_16x16x32_fp8_fp8 v[12:15], a[72:73], a[8:9], 0  // 0000000075C4: D3F3000C 1A021148
	buffer_load_dwordx4 a[60:63], v49, s[24:27], 0 offen offset:1024// 0000000075CC: E05C1400 80863C31
	buffer_load_dword v42, s[20:23], 0 offen lds               // 0000000075D4: E0511000 8005002A
	s_add_u32 m0, 0x100, s49                                   // 0000000075DC: 807C31FF 00000100
	v_mfma_f32_16x16x32_fp8_fp8 v[12:15], a[74:75], a[10:11], v[12:15]// 0000000075E4: D3F3000C 1C32154A
	v_mfma_f32_16x16x32_fp8_fp8 v[12:15], a[76:77], a[12:13], v[12:15]// 0000000075EC: D3F3000C 1C32194C
	buffer_load_dword v43, s[20:23], 0 offen lds               // 0000000075F4: E0511000 8005002B
	s_add_u32 m0, 0x200, s49                                   // 0000000075FC: 807C31FF 00000200
	v_mfma_f32_16x16x32_fp8_fp8 v[12:15], a[78:79], a[14:15], v[12:15]// 000000007604: D3F3000C 1C321D4E
	v_fma_f32 v56, v8, v6, v56                                 // 00000000760C: D1CB0038 04E20D08
	v_fma_f32 v57, v9, v6, v57                                 // 000000007614: D1CB0039 04E60D09
	v_fma_f32 v58, v10, v6, v58                                // 00000000761C: D1CB003A 04EA0D0A
	v_fma_f32 v59, v11, v6, v59                                // 000000007624: D1CB003B 04EE0D0B
	v_mul_f32_dpp v4, v26, v41 row_newbcast:0 row_mask:0xf bank_mask:0xf// 00000000762C: 0A0852FA FF01501A
	v_mfma_f32_16x16x32_fp8_fp8 v[8:11], a[64:65], a[16:17], 0 // 000000007634: D3F30008 1A022140
	buffer_load_dword v44, s[20:23], 0 offen lds               // 00000000763C: E0511000 8005002C
	s_add_u32 m0, 0x300, s49                                   // 000000007644: 807C31FF 00000300
	v_mfma_f32_16x16x32_fp8_fp8 v[8:11], a[66:67], a[18:19], v[8:11]// 00000000764C: D3F30008 1C222542
	v_mfma_f32_16x16x32_fp8_fp8 v[8:11], a[68:69], a[20:21], v[8:11]// 000000007654: D3F30008 1C222944
	buffer_load_dword v45, s[20:23], 0 offen lds               // 00000000765C: E0511000 8005002D
	s_add_u32 m0, 0x400, s49                                   // 000000007664: 807C31FF 00000400
	v_mfma_f32_16x16x32_fp8_fp8 v[8:11], a[70:71], a[22:23], v[8:11]// 00000000766C: D3F30008 1C222D46
	v_fma_f32 v68, v12, v6, v68                                // 000000007674: D1CB0044 05120D0C
	v_fma_f32 v69, v13, v6, v69                                // 00000000767C: D1CB0045 05160D0D
	v_fma_f32 v70, v14, v6, v70                                // 000000007684: D1CB0046 051A0D0E
	v_fma_f32 v71, v15, v6, v71                                // 00000000768C: D1CB0047 051E0D0F
	v_mfma_f32_16x16x32_fp8_fp8 v[12:15], a[72:73], a[16:17], 0// 000000007694: D3F3000C 1A022148
	buffer_load_dword v46, s[20:23], 0 offen lds               // 00000000769C: E0511000 8005002E
	s_add_u32 m0, 0x500, s49                                   // 0000000076A4: 807C31FF 00000500
	v_mfma_f32_16x16x32_fp8_fp8 v[12:15], a[74:75], a[18:19], v[12:15]// 0000000076AC: D3F3000C 1C32254A
	v_mfma_f32_16x16x32_fp8_fp8 v[12:15], a[76:77], a[20:21], v[12:15]// 0000000076B4: D3F3000C 1C32294C
	buffer_load_dword v47, s[20:23], 0 offen lds               // 0000000076BC: E0511000 8005002F
	s_add_u32 m0, 0, s50                                       // 0000000076C4: 807C3280
	v_mfma_f32_16x16x32_fp8_fp8 v[12:15], a[78:79], a[22:23], v[12:15]// 0000000076C8: D3F3000C 1C322D4E
	v_fma_f32 v60, v8, v4, v60                                 // 0000000076D0: D1CB003C 04F20908
	v_fma_f32 v61, v9, v4, v61                                 // 0000000076D8: D1CB003D 04F60909
	v_fma_f32 v62, v10, v4, v62                                // 0000000076E0: D1CB003E 04FA090A
	v_fma_f32 v63, v11, v4, v63                                // 0000000076E8: D1CB003F 04FE090B
	v_fma_f32 v72, v12, v4, v72                                // 0000000076F0: D1CB0048 0522090C
	v_fma_f32 v73, v13, v4, v73                                // 0000000076F8: D1CB0049 0526090D
	v_fma_f32 v74, v14, v4, v74                                // 000000007700: D1CB004A 052A090E
	v_fma_f32 v75, v15, v4, v75                                // 000000007708: D1CB004B 052E090F
	buffer_load_dword v36, v30, s[28:31], 0 offen              // 000000007710: E0501000 8007241E
	buffer_load_dword v37, v31, s[28:31], 0 offen              // 000000007718: E0501000 8007251F
	buffer_load_dword v38, v32, s[28:31], 0 offen              // 000000007720: E0501000 80072620
	s_waitcnt vmcnt(14)                                        // 000000007728: BF8C0F7E
	s_barrier                                                  // 00000000772C: BF8A0000
	v_mul_f32_dpp v4, v29, v39 row_newbcast:0 row_mask:0xf bank_mask:0xf// 000000007730: 0A084EFA FF01501D
	v_mfma_f32_16x16x32_fp8_fp8 v[8:11], a[80:81], a[0:1], 0   // 000000007738: D3F30008 1A020150
	buffer_load_dword v27, v23, s[32:35], 0 offen              // 000000007740: E0501000 80081B17
	buffer_load_dwordx4 a[64:67], v48, s[84:87], 0 offen       // 000000007748: E05C1000 80954030
	v_mfma_f32_16x16x32_fp8_fp8 v[8:11], a[82:83], a[2:3], v[8:11]// 000000007750: D3F30008 1C220552
	v_mfma_f32_16x16x32_fp8_fp8 v[8:11], a[84:85], a[4:5], v[8:11]// 000000007758: D3F30008 1C220954
	ds_read_b128 a[24:27], v2                                  // 000000007760: DBFE0000 18000002
	ds_read_b128 a[28:31], v2 offset:64                        // 000000007768: DBFE0040 1C000002
	v_mfma_f32_16x16x32_fp8_fp8 v[8:11], a[86:87], a[6:7], v[8:11]// 000000007770: D3F30008 1C220D56
	v_mfma_f32_16x16x32_fp8_fp8 v[12:15], a[88:89], a[0:1], 0  // 000000007778: D3F3000C 1A020158
	buffer_load_dwordx4 a[68:71], v48, s[84:87], 0 offen offset:1024// 000000007780: E05C1400 80954430
	v_mfma_f32_16x16x32_fp8_fp8 v[12:15], a[90:91], a[2:3], v[12:15]// 000000007788: D3F3000C 1C32055A
	v_mfma_f32_16x16x32_fp8_fp8 v[12:15], a[92:93], a[4:5], v[12:15]// 000000007790: D3F3000C 1C32095C
	ds_read_b128 a[32:35], v2 offset:512                       // 000000007798: DBFE0200 20000002
	ds_read_b128 a[36:39], v2 offset:576                       // 0000000077A0: DBFE0240 24000002
	v_mfma_f32_16x16x32_fp8_fp8 v[12:15], a[94:95], a[6:7], v[12:15]// 0000000077A8: D3F3000C 1C320D5E
	v_fma_f32 v76, v8, v4, v76                                 // 0000000077B0: D1CB004C 05320908
	v_fma_f32 v77, v9, v4, v77                                 // 0000000077B8: D1CB004D 05360909
	v_fma_f32 v78, v10, v4, v78                                // 0000000077C0: D1CB004E 053A090A
	v_fma_f32 v79, v11, v4, v79                                // 0000000077C8: D1CB004F 053E090B
	v_mul_f32_dpp v6, v29, v40 row_newbcast:0 row_mask:0xf bank_mask:0xf// 0000000077D0: 0A0C50FA FF01501D
	v_mfma_f32_16x16x32_fp8_fp8 v[8:11], a[80:81], a[8:9], 0   // 0000000077D8: D3F30008 1A021150
	buffer_load_dwordx4 a[72:75], v49, s[84:87], 0 offen       // 0000000077E0: E05C1000 80954831
	v_mfma_f32_16x16x32_fp8_fp8 v[8:11], a[82:83], a[10:11], v[8:11]// 0000000077E8: D3F30008 1C221552
	v_mfma_f32_16x16x32_fp8_fp8 v[8:11], a[84:85], a[12:13], v[8:11]// 0000000077F0: D3F30008 1C221954
	ds_read_b128 a[40:43], v2 offset:1024                      // 0000000077F8: DBFE0400 28000002
	ds_read_b128 a[44:47], v2 offset:1088                      // 000000007800: DBFE0440 2C000002
	v_mfma_f32_16x16x32_fp8_fp8 v[8:11], a[86:87], a[14:15], v[8:11]// 000000007808: D3F30008 1C221D56
	v_fma_f32 v88, v12, v4, v88                                // 000000007810: D1CB0058 0562090C
	v_fma_f32 v89, v13, v4, v89                                // 000000007818: D1CB0059 0566090D
	v_fma_f32 v90, v14, v4, v90                                // 000000007820: D1CB005A 056A090E
	v_fma_f32 v91, v15, v4, v91                                // 000000007828: D1CB005B 056E090F
	v_mfma_f32_16x16x32_fp8_fp8 v[12:15], a[88:89], a[8:9], 0  // 000000007830: D3F3000C 1A021158
	buffer_load_dwordx4 a[76:79], v49, s[84:87], 0 offen offset:1024// 000000007838: E05C1400 80954C31
	v_mfma_f32_16x16x32_fp8_fp8 v[12:15], a[90:91], a[10:11], v[12:15]// 000000007840: D3F3000C 1C32155A
	v_mfma_f32_16x16x32_fp8_fp8 v[12:15], a[92:93], a[12:13], v[12:15]// 000000007848: D3F3000C 1C32195C
	v_mfma_f32_16x16x32_fp8_fp8 v[12:15], a[94:95], a[14:15], v[12:15]// 000000007850: D3F3000C 1C321D5E
	v_fma_f32 v80, v8, v6, v80                                 // 000000007858: D1CB0050 05420D08
	v_fma_f32 v81, v9, v6, v81                                 // 000000007860: D1CB0051 05460D09
	v_fma_f32 v82, v10, v6, v82                                // 000000007868: D1CB0052 054A0D0A
	v_fma_f32 v83, v11, v6, v83                                // 000000007870: D1CB0053 054E0D0B
	v_mul_f32_dpp v4, v29, v41 row_newbcast:0 row_mask:0xf bank_mask:0xf// 000000007878: 0A0852FA FF01501D
	v_mfma_f32_16x16x32_fp8_fp8 v[8:11], a[80:81], a[16:17], 0 // 000000007880: D3F30008 1A022150
	s_add_u32 s60, 0x180, s80                                  // 000000007888: 803C50FF 00000180
	s_cmp_lt_u32 s60, s81                                      // 000000007890: BF0A513C
	s_cselect_b32 s57, s57, 0                                  // 000000007894: 85398039
	s_cselect_b32 s3, s3, 0                                    // 000000007898: 85038003
	v_mfma_f32_16x16x32_fp8_fp8 v[8:11], a[82:83], a[18:19], v[8:11]// 00000000789C: D3F30008 1C222552
	s_add_u32 s60, 0x100, s80                                  // 0000000078A4: 803C50FF 00000100
	s_cmp_lt_u32 s60, s81                                      // 0000000078AC: BF0A513C
	s_cselect_b32 s58, s58, 0                                  // 0000000078B0: 853A803A
	v_mfma_f32_16x16x32_fp8_fp8 v[8:11], a[84:85], a[20:21], v[8:11]// 0000000078B4: D3F30008 1C222954
	s_add_u32 s60, 0x100, s80                                  // 0000000078BC: 803C50FF 00000100
	s_cmp_lt_u32 s60, s81                                      // 0000000078C4: BF0A513C
	s_cselect_b32 s83, s83, 0                                  // 0000000078C8: 85538053
	s_cselect_b32 s4, s4, 0                                    // 0000000078CC: 85048004
	v_mfma_f32_16x16x32_fp8_fp8 v[8:11], a[86:87], a[22:23], v[8:11]// 0000000078D0: D3F30008 1C222D56
	s_add_u32 s24, s58, s24                                    // 0000000078D8: 8018183A
	s_addc_u32 s25, 0, s25                                     // 0000000078DC: 82191980
	v_fma_f32 v92, v12, v6, v92                                // 0000000078E0: D1CB005C 05720D0C
	v_fma_f32 v93, v13, v6, v93                                // 0000000078E8: D1CB005D 05760D0D
	v_fma_f32 v94, v14, v6, v94                                // 0000000078F0: D1CB005E 057A0D0E
	v_fma_f32 v95, v15, v6, v95                                // 0000000078F8: D1CB005F 057E0D0F
	v_mfma_f32_16x16x32_fp8_fp8 v[12:15], a[88:89], a[16:17], 0// 000000007900: D3F3000C 1A022158
	s_add_u32 s20, s57, s20                                    // 000000007908: 80141439
	s_addc_u32 s21, 0, s21                                     // 00000000790C: 82151580
	s_add_u32 s28, s3, s28                                     // 000000007910: 801C1C03
	s_addc_u32 s29, 0, s29                                     // 000000007914: 821D1D80
	v_mfma_f32_16x16x32_fp8_fp8 v[12:15], a[90:91], a[18:19], v[12:15]// 000000007918: D3F3000C 1C32255A
	s_add_u32 s84, s83, s84                                    // 000000007920: 80545453
	s_addc_u32 s85, 0, s85                                     // 000000007924: 82555580
	v_mfma_f32_16x16x32_fp8_fp8 v[12:15], a[92:93], a[20:21], v[12:15]// 000000007928: D3F3000C 1C32295C
	s_add_u32 s32, s4, s32                                     // 000000007930: 80202004
	s_addc_u32 s33, 0, s33                                     // 000000007934: 82212180
	v_mfma_f32_16x16x32_fp8_fp8 v[12:15], a[94:95], a[22:23], v[12:15]// 000000007938: D3F3000C 1C322D5E
	v_fma_f32 v84, v8, v4, v84                                 // 000000007940: D1CB0054 05520908
	v_fma_f32 v85, v9, v4, v85                                 // 000000007948: D1CB0055 05560909
	v_fma_f32 v86, v10, v4, v86                                // 000000007950: D1CB0056 055A090A
	v_fma_f32 v87, v11, v4, v87                                // 000000007958: D1CB0057 055E090B
	v_fma_f32 v96, v12, v4, v96                                // 000000007960: D1CB0060 0582090C
	v_fma_f32 v97, v13, v4, v97                                // 000000007968: D1CB0061 0586090D
	v_fma_f32 v98, v14, v4, v98                                // 000000007970: D1CB0062 058A090E
	v_fma_f32 v99, v15, v4, v99                                // 000000007978: D1CB0063 058E090F
	s_addk_i32 s80, 0x80                                       // 000000007980: B7500080
	s_cmp_lt_i32 s80, s81                                      // 000000007984: BF045150
	s_cbranch_scc0 label_175C                                  // 000000007988: BF840376
	s_waitcnt vmcnt(14) lgkmcnt(0)                             // 00000000798C: BF8C007E
	v_mul_f32_dpp v4, v24, v33 row_newbcast:0 row_mask:0xf bank_mask:0xf// 000000007990: 0A0842FA FF015018
	v_mfma_f32_16x16x32_fp8_fp8 v[8:11], a[48:49], a[24:25], 0 // 000000007998: D3F30008 1A023130
	buffer_load_dword v25, v22, s[32:35], 0 offen              // 0000000079A0: E0501000 80081916
	buffer_load_dwordx4 a[80:83], v48, s[24:27], 0 offen       // 0000000079A8: E05C1000 80865030
	v_mfma_f32_16x16x32_fp8_fp8 v[8:11], a[50:51], a[26:27], v[8:11]// 0000000079B0: D3F30008 1C223532
	v_mfma_f32_16x16x32_fp8_fp8 v[8:11], a[52:53], a[28:29], v[8:11]// 0000000079B8: D3F30008 1C223934
	v_mfma_f32_16x16x32_fp8_fp8 v[8:11], a[54:55], a[30:31], v[8:11]// 0000000079C0: D3F30008 1C223D36
	v_mfma_f32_16x16x32_fp8_fp8 v[12:15], a[56:57], a[24:25], 0// 0000000079C8: D3F3000C 1A023138
	buffer_load_dwordx4 a[84:87], v48, s[24:27], 0 offen offset:1024// 0000000079D0: E05C1400 80865430
	v_mfma_f32_16x16x32_fp8_fp8 v[12:15], a[58:59], a[26:27], v[12:15]// 0000000079D8: D3F3000C 1C32353A
	v_mfma_f32_16x16x32_fp8_fp8 v[12:15], a[60:61], a[28:29], v[12:15]// 0000000079E0: D3F3000C 1C32393C
	v_mfma_f32_16x16x32_fp8_fp8 v[12:15], a[62:63], a[30:31], v[12:15]// 0000000079E8: D3F3000C 1C323D3E
	v_fma_f32 v52, v8, v4, v52                                 // 0000000079F0: D1CB0034 04D20908
	v_fma_f32 v53, v9, v4, v53                                 // 0000000079F8: D1CB0035 04D60909
	v_fma_f32 v54, v10, v4, v54                                // 000000007A00: D1CB0036 04DA090A
	v_fma_f32 v55, v11, v4, v55                                // 000000007A08: D1CB0037 04DE090B
	v_mul_f32_dpp v6, v24, v34 row_newbcast:0 row_mask:0xf bank_mask:0xf// 000000007A10: 0A0C44FA FF015018
	v_mfma_f32_16x16x32_fp8_fp8 v[8:11], a[48:49], a[32:33], 0 // 000000007A18: D3F30008 1A024130
	buffer_load_dwordx4 a[88:91], v49, s[24:27], 0 offen       // 000000007A20: E05C1000 80865831
	v_mfma_f32_16x16x32_fp8_fp8 v[8:11], a[50:51], a[34:35], v[8:11]// 000000007A28: D3F30008 1C224532
	v_mfma_f32_16x16x32_fp8_fp8 v[8:11], a[52:53], a[36:37], v[8:11]// 000000007A30: D3F30008 1C224934
	v_mfma_f32_16x16x32_fp8_fp8 v[8:11], a[54:55], a[38:39], v[8:11]// 000000007A38: D3F30008 1C224D36
	v_fma_f32 v64, v12, v4, v64                                // 000000007A40: D1CB0040 0502090C
	v_fma_f32 v65, v13, v4, v65                                // 000000007A48: D1CB0041 0506090D
	v_fma_f32 v66, v14, v4, v66                                // 000000007A50: D1CB0042 050A090E
	v_fma_f32 v67, v15, v4, v67                                // 000000007A58: D1CB0043 050E090F
	v_mfma_f32_16x16x32_fp8_fp8 v[12:15], a[56:57], a[32:33], 0// 000000007A60: D3F3000C 1A024138
	buffer_load_dwordx4 a[92:95], v49, s[24:27], 0 offen offset:1024// 000000007A68: E05C1400 80865C31
	buffer_load_dword v42, s[20:23], 0 offen lds               // 000000007A70: E0511000 8005002A
	s_add_u32 m0, 0x100, s50                                   // 000000007A78: 807C32FF 00000100
	v_mfma_f32_16x16x32_fp8_fp8 v[12:15], a[58:59], a[34:35], v[12:15]// 000000007A80: D3F3000C 1C32453A
	v_mfma_f32_16x16x32_fp8_fp8 v[12:15], a[60:61], a[36:37], v[12:15]// 000000007A88: D3F3000C 1C32493C
	buffer_load_dword v43, s[20:23], 0 offen lds               // 000000007A90: E0511000 8005002B
	s_add_u32 m0, 0x200, s50                                   // 000000007A98: 807C32FF 00000200
	v_mfma_f32_16x16x32_fp8_fp8 v[12:15], a[62:63], a[38:39], v[12:15]// 000000007AA0: D3F3000C 1C324D3E
	v_fma_f32 v56, v8, v6, v56                                 // 000000007AA8: D1CB0038 04E20D08
	v_fma_f32 v57, v9, v6, v57                                 // 000000007AB0: D1CB0039 04E60D09
	v_fma_f32 v58, v10, v6, v58                                // 000000007AB8: D1CB003A 04EA0D0A
	v_fma_f32 v59, v11, v6, v59                                // 000000007AC0: D1CB003B 04EE0D0B
	v_mul_f32_dpp v4, v24, v35 row_newbcast:0 row_mask:0xf bank_mask:0xf// 000000007AC8: 0A0846FA FF015018
	v_mfma_f32_16x16x32_fp8_fp8 v[8:11], a[48:49], a[40:41], 0 // 000000007AD0: D3F30008 1A025130
	buffer_load_dword v44, s[20:23], 0 offen lds               // 000000007AD8: E0511000 8005002C
	s_add_u32 m0, 0x300, s50                                   // 000000007AE0: 807C32FF 00000300
	v_mfma_f32_16x16x32_fp8_fp8 v[8:11], a[50:51], a[42:43], v[8:11]// 000000007AE8: D3F30008 1C225532
	v_mfma_f32_16x16x32_fp8_fp8 v[8:11], a[52:53], a[44:45], v[8:11]// 000000007AF0: D3F30008 1C225934
	buffer_load_dword v45, s[20:23], 0 offen lds               // 000000007AF8: E0511000 8005002D
	s_add_u32 m0, 0x400, s50                                   // 000000007B00: 807C32FF 00000400
	v_mfma_f32_16x16x32_fp8_fp8 v[8:11], a[54:55], a[46:47], v[8:11]// 000000007B08: D3F30008 1C225D36
	v_fma_f32 v68, v12, v6, v68                                // 000000007B10: D1CB0044 05120D0C
	v_fma_f32 v69, v13, v6, v69                                // 000000007B18: D1CB0045 05160D0D
	v_fma_f32 v70, v14, v6, v70                                // 000000007B20: D1CB0046 051A0D0E
	v_fma_f32 v71, v15, v6, v71                                // 000000007B28: D1CB0047 051E0D0F
	v_mfma_f32_16x16x32_fp8_fp8 v[12:15], a[56:57], a[40:41], 0// 000000007B30: D3F3000C 1A025138
	buffer_load_dword v46, s[20:23], 0 offen lds               // 000000007B38: E0511000 8005002E
	s_add_u32 m0, 0x500, s50                                   // 000000007B40: 807C32FF 00000500
	v_mfma_f32_16x16x32_fp8_fp8 v[12:15], a[58:59], a[42:43], v[12:15]// 000000007B48: D3F3000C 1C32553A
	v_mfma_f32_16x16x32_fp8_fp8 v[12:15], a[60:61], a[44:45], v[12:15]// 000000007B50: D3F3000C 1C32593C
	buffer_load_dword v47, s[20:23], 0 offen lds               // 000000007B58: E0511000 8005002F
	s_add_u32 m0, 0, s48                                       // 000000007B60: 807C3080
	v_mfma_f32_16x16x32_fp8_fp8 v[12:15], a[62:63], a[46:47], v[12:15]// 000000007B64: D3F3000C 1C325D3E
	v_fma_f32 v60, v8, v4, v60                                 // 000000007B6C: D1CB003C 04F20908
	v_fma_f32 v61, v9, v4, v61                                 // 000000007B74: D1CB003D 04F60909
	v_fma_f32 v62, v10, v4, v62                                // 000000007B7C: D1CB003E 04FA090A
	v_fma_f32 v63, v11, v4, v63                                // 000000007B84: D1CB003F 04FE090B
	v_fma_f32 v72, v12, v4, v72                                // 000000007B8C: D1CB0048 0522090C
	v_fma_f32 v73, v13, v4, v73                                // 000000007B94: D1CB0049 0526090D
	v_fma_f32 v74, v14, v4, v74                                // 000000007B9C: D1CB004A 052A090E
	v_fma_f32 v75, v15, v4, v75                                // 000000007BA4: D1CB004B 052E090F
	buffer_load_dword v39, v30, s[28:31], 0 offen              // 000000007BAC: E0501000 8007271E
	buffer_load_dword v40, v31, s[28:31], 0 offen              // 000000007BB4: E0501000 8007281F
	buffer_load_dword v41, v32, s[28:31], 0 offen              // 000000007BBC: E0501000 80072920
	s_waitcnt vmcnt(14)                                        // 000000007BC4: BF8C0F7E
	s_barrier                                                  // 000000007BC8: BF8A0000
	v_mul_f32_dpp v4, v27, v33 row_newbcast:0 row_mask:0xf bank_mask:0xf// 000000007BCC: 0A0842FA FF01501B
	v_mfma_f32_16x16x32_fp8_fp8 v[8:11], a[64:65], a[24:25], 0 // 000000007BD4: D3F30008 1A023140
	buffer_load_dword v28, v23, s[32:35], 0 offen              // 000000007BDC: E0501000 80081C17
	buffer_load_dwordx4 a[48:51], v48, s[84:87], 0 offen       // 000000007BE4: E05C1000 80953030
	v_mfma_f32_16x16x32_fp8_fp8 v[8:11], a[66:67], a[26:27], v[8:11]// 000000007BEC: D3F30008 1C223542
	v_mfma_f32_16x16x32_fp8_fp8 v[8:11], a[68:69], a[28:29], v[8:11]// 000000007BF4: D3F30008 1C223944
	ds_read_b128 a[0:3], v2 offset:6272                        // 000000007BFC: DBFE1880 00000002
	ds_read_b128 a[4:7], v2 offset:6336                        // 000000007C04: DBFE18C0 04000002
	v_mfma_f32_16x16x32_fp8_fp8 v[8:11], a[70:71], a[30:31], v[8:11]// 000000007C0C: D3F30008 1C223D46
	v_mfma_f32_16x16x32_fp8_fp8 v[12:15], a[72:73], a[24:25], 0// 000000007C14: D3F3000C 1A023148
	buffer_load_dwordx4 a[52:55], v48, s[84:87], 0 offen offset:1024// 000000007C1C: E05C1400 80953430
	v_mfma_f32_16x16x32_fp8_fp8 v[12:15], a[74:75], a[26:27], v[12:15]// 000000007C24: D3F3000C 1C32354A
	v_mfma_f32_16x16x32_fp8_fp8 v[12:15], a[76:77], a[28:29], v[12:15]// 000000007C2C: D3F3000C 1C32394C
	ds_read_b128 a[8:11], v2 offset:6784                       // 000000007C34: DBFE1A80 08000002
	ds_read_b128 a[12:15], v2 offset:6848                      // 000000007C3C: DBFE1AC0 0C000002
	v_mfma_f32_16x16x32_fp8_fp8 v[12:15], a[78:79], a[30:31], v[12:15]// 000000007C44: D3F3000C 1C323D4E
	v_fma_f32 v76, v8, v4, v76                                 // 000000007C4C: D1CB004C 05320908
	v_fma_f32 v77, v9, v4, v77                                 // 000000007C54: D1CB004D 05360909
	v_fma_f32 v78, v10, v4, v78                                // 000000007C5C: D1CB004E 053A090A
	v_fma_f32 v79, v11, v4, v79                                // 000000007C64: D1CB004F 053E090B
	v_mul_f32_dpp v6, v27, v34 row_newbcast:0 row_mask:0xf bank_mask:0xf// 000000007C6C: 0A0C44FA FF01501B
	v_mfma_f32_16x16x32_fp8_fp8 v[8:11], a[64:65], a[32:33], 0 // 000000007C74: D3F30008 1A024140
	buffer_load_dwordx4 a[56:59], v49, s[84:87], 0 offen       // 000000007C7C: E05C1000 80953831
	v_mfma_f32_16x16x32_fp8_fp8 v[8:11], a[66:67], a[34:35], v[8:11]// 000000007C84: D3F30008 1C224542
	v_mfma_f32_16x16x32_fp8_fp8 v[8:11], a[68:69], a[36:37], v[8:11]// 000000007C8C: D3F30008 1C224944
	ds_read_b128 a[16:19], v2 offset:7296                      // 000000007C94: DBFE1C80 10000002
	ds_read_b128 a[20:23], v2 offset:7360                      // 000000007C9C: DBFE1CC0 14000002
	v_mfma_f32_16x16x32_fp8_fp8 v[8:11], a[70:71], a[38:39], v[8:11]// 000000007CA4: D3F30008 1C224D46
	v_fma_f32 v88, v12, v4, v88                                // 000000007CAC: D1CB0058 0562090C
	v_fma_f32 v89, v13, v4, v89                                // 000000007CB4: D1CB0059 0566090D
	v_fma_f32 v90, v14, v4, v90                                // 000000007CBC: D1CB005A 056A090E
	v_fma_f32 v91, v15, v4, v91                                // 000000007CC4: D1CB005B 056E090F
	v_mfma_f32_16x16x32_fp8_fp8 v[12:15], a[72:73], a[32:33], 0// 000000007CCC: D3F3000C 1A024148
	buffer_load_dwordx4 a[60:63], v49, s[84:87], 0 offen offset:1024// 000000007CD4: E05C1400 80953C31
	v_mfma_f32_16x16x32_fp8_fp8 v[12:15], a[74:75], a[34:35], v[12:15]// 000000007CDC: D3F3000C 1C32454A
	v_mfma_f32_16x16x32_fp8_fp8 v[12:15], a[76:77], a[36:37], v[12:15]// 000000007CE4: D3F3000C 1C32494C
	v_mfma_f32_16x16x32_fp8_fp8 v[12:15], a[78:79], a[38:39], v[12:15]// 000000007CEC: D3F3000C 1C324D4E
	v_fma_f32 v80, v8, v6, v80                                 // 000000007CF4: D1CB0050 05420D08
	v_fma_f32 v81, v9, v6, v81                                 // 000000007CFC: D1CB0051 05460D09
	v_fma_f32 v82, v10, v6, v82                                // 000000007D04: D1CB0052 054A0D0A
	v_fma_f32 v83, v11, v6, v83                                // 000000007D0C: D1CB0053 054E0D0B
	v_mul_f32_dpp v4, v27, v35 row_newbcast:0 row_mask:0xf bank_mask:0xf// 000000007D14: 0A0846FA FF01501B
	v_mfma_f32_16x16x32_fp8_fp8 v[8:11], a[64:65], a[40:41], 0 // 000000007D1C: D3F30008 1A025140
	s_add_u32 s60, 0x180, s80                                  // 000000007D24: 803C50FF 00000180
	s_cmp_lt_u32 s60, s81                                      // 000000007D2C: BF0A513C
	s_cselect_b32 s57, s57, 0                                  // 000000007D30: 85398039
	s_cselect_b32 s3, s3, 0                                    // 000000007D34: 85038003
	v_mfma_f32_16x16x32_fp8_fp8 v[8:11], a[66:67], a[42:43], v[8:11]// 000000007D38: D3F30008 1C225542
	s_add_u32 s60, 0x100, s80                                  // 000000007D40: 803C50FF 00000100
	s_cmp_lt_u32 s60, s81                                      // 000000007D48: BF0A513C
	s_cselect_b32 s58, s58, 0                                  // 000000007D4C: 853A803A
	v_mfma_f32_16x16x32_fp8_fp8 v[8:11], a[68:69], a[44:45], v[8:11]// 000000007D50: D3F30008 1C225944
	s_add_u32 s60, 0x100, s80                                  // 000000007D58: 803C50FF 00000100
	s_cmp_lt_u32 s60, s81                                      // 000000007D60: BF0A513C
	s_cselect_b32 s83, s83, 0                                  // 000000007D64: 85538053
	s_cselect_b32 s4, s4, 0                                    // 000000007D68: 85048004
	v_mfma_f32_16x16x32_fp8_fp8 v[8:11], a[70:71], a[46:47], v[8:11]// 000000007D6C: D3F30008 1C225D46
	s_add_u32 s24, s58, s24                                    // 000000007D74: 8018183A
	s_addc_u32 s25, 0, s25                                     // 000000007D78: 82191980
	v_fma_f32 v92, v12, v6, v92                                // 000000007D7C: D1CB005C 05720D0C
	v_fma_f32 v93, v13, v6, v93                                // 000000007D84: D1CB005D 05760D0D
	v_fma_f32 v94, v14, v6, v94                                // 000000007D8C: D1CB005E 057A0D0E
	v_fma_f32 v95, v15, v6, v95                                // 000000007D94: D1CB005F 057E0D0F
	v_mfma_f32_16x16x32_fp8_fp8 v[12:15], a[72:73], a[40:41], 0// 000000007D9C: D3F3000C 1A025148
	s_add_u32 s20, s57, s20                                    // 000000007DA4: 80141439
	s_addc_u32 s21, 0, s21                                     // 000000007DA8: 82151580
	s_add_u32 s28, s3, s28                                     // 000000007DAC: 801C1C03
	s_addc_u32 s29, 0, s29                                     // 000000007DB0: 821D1D80
	v_mfma_f32_16x16x32_fp8_fp8 v[12:15], a[74:75], a[42:43], v[12:15]// 000000007DB4: D3F3000C 1C32554A
	s_add_u32 s84, s83, s84                                    // 000000007DBC: 80545453
	s_addc_u32 s85, 0, s85                                     // 000000007DC0: 82555580
	v_mfma_f32_16x16x32_fp8_fp8 v[12:15], a[76:77], a[44:45], v[12:15]// 000000007DC4: D3F3000C 1C32594C
	s_add_u32 s32, s4, s32                                     // 000000007DCC: 80202004
	s_addc_u32 s33, 0, s33                                     // 000000007DD0: 82212180
	v_mfma_f32_16x16x32_fp8_fp8 v[12:15], a[78:79], a[46:47], v[12:15]// 000000007DD4: D3F3000C 1C325D4E
	v_fma_f32 v84, v8, v4, v84                                 // 000000007DDC: D1CB0054 05520908
	v_fma_f32 v85, v9, v4, v85                                 // 000000007DE4: D1CB0055 05560909
	v_fma_f32 v86, v10, v4, v86                                // 000000007DEC: D1CB0056 055A090A
	v_fma_f32 v87, v11, v4, v87                                // 000000007DF4: D1CB0057 055E090B
	v_fma_f32 v96, v12, v4, v96                                // 000000007DFC: D1CB0060 0582090C
	v_fma_f32 v97, v13, v4, v97                                // 000000007E04: D1CB0061 0586090D
	v_fma_f32 v98, v14, v4, v98                                // 000000007E0C: D1CB0062 058A090E
	v_fma_f32 v99, v15, v4, v99                                // 000000007E14: D1CB0063 058E090F
	s_addk_i32 s80, 0x80                                       // 000000007E1C: B7500080
	s_cmp_lt_i32 s80, s81                                      // 000000007E20: BF045150
	s_cbranch_scc0 label_175C                                  // 000000007E24: BF84024F
	s_waitcnt vmcnt(14) lgkmcnt(0)                             // 000000007E28: BF8C007E
	v_mul_f32_dpp v4, v25, v36 row_newbcast:0 row_mask:0xf bank_mask:0xf// 000000007E2C: 0A0848FA FF015019
	v_mfma_f32_16x16x32_fp8_fp8 v[8:11], a[80:81], a[0:1], 0   // 000000007E34: D3F30008 1A020150
	buffer_load_dword v26, v22, s[32:35], 0 offen              // 000000007E3C: E0501000 80081A16
	buffer_load_dwordx4 a[64:67], v48, s[24:27], 0 offen       // 000000007E44: E05C1000 80864030
	v_mfma_f32_16x16x32_fp8_fp8 v[8:11], a[82:83], a[2:3], v[8:11]// 000000007E4C: D3F30008 1C220552
	v_mfma_f32_16x16x32_fp8_fp8 v[8:11], a[84:85], a[4:5], v[8:11]// 000000007E54: D3F30008 1C220954
	v_mfma_f32_16x16x32_fp8_fp8 v[8:11], a[86:87], a[6:7], v[8:11]// 000000007E5C: D3F30008 1C220D56
	v_mfma_f32_16x16x32_fp8_fp8 v[12:15], a[88:89], a[0:1], 0  // 000000007E64: D3F3000C 1A020158
	buffer_load_dwordx4 a[68:71], v48, s[24:27], 0 offen offset:1024// 000000007E6C: E05C1400 80864430
	v_mfma_f32_16x16x32_fp8_fp8 v[12:15], a[90:91], a[2:3], v[12:15]// 000000007E74: D3F3000C 1C32055A
	v_mfma_f32_16x16x32_fp8_fp8 v[12:15], a[92:93], a[4:5], v[12:15]// 000000007E7C: D3F3000C 1C32095C
	v_mfma_f32_16x16x32_fp8_fp8 v[12:15], a[94:95], a[6:7], v[12:15]// 000000007E84: D3F3000C 1C320D5E
	v_fma_f32 v52, v8, v4, v52                                 // 000000007E8C: D1CB0034 04D20908
	v_fma_f32 v53, v9, v4, v53                                 // 000000007E94: D1CB0035 04D60909
	v_fma_f32 v54, v10, v4, v54                                // 000000007E9C: D1CB0036 04DA090A
	v_fma_f32 v55, v11, v4, v55                                // 000000007EA4: D1CB0037 04DE090B
	v_mul_f32_dpp v6, v25, v37 row_newbcast:0 row_mask:0xf bank_mask:0xf// 000000007EAC: 0A0C4AFA FF015019
	v_mfma_f32_16x16x32_fp8_fp8 v[8:11], a[80:81], a[8:9], 0   // 000000007EB4: D3F30008 1A021150
	buffer_load_dwordx4 a[72:75], v49, s[24:27], 0 offen       // 000000007EBC: E05C1000 80864831
	v_mfma_f32_16x16x32_fp8_fp8 v[8:11], a[82:83], a[10:11], v[8:11]// 000000007EC4: D3F30008 1C221552
	v_mfma_f32_16x16x32_fp8_fp8 v[8:11], a[84:85], a[12:13], v[8:11]// 000000007ECC: D3F30008 1C221954
	v_mfma_f32_16x16x32_fp8_fp8 v[8:11], a[86:87], a[14:15], v[8:11]// 000000007ED4: D3F30008 1C221D56
	v_fma_f32 v64, v12, v4, v64                                // 000000007EDC: D1CB0040 0502090C
	v_fma_f32 v65, v13, v4, v65                                // 000000007EE4: D1CB0041 0506090D
	v_fma_f32 v66, v14, v4, v66                                // 000000007EEC: D1CB0042 050A090E
	v_fma_f32 v67, v15, v4, v67                                // 000000007EF4: D1CB0043 050E090F
	v_mfma_f32_16x16x32_fp8_fp8 v[12:15], a[88:89], a[8:9], 0  // 000000007EFC: D3F3000C 1A021158
	buffer_load_dwordx4 a[76:79], v49, s[24:27], 0 offen offset:1024// 000000007F04: E05C1400 80864C31
	buffer_load_dword v42, s[20:23], 0 offen lds               // 000000007F0C: E0511000 8005002A
	s_add_u32 m0, 0x100, s48                                   // 000000007F14: 807C30FF 00000100
	v_mfma_f32_16x16x32_fp8_fp8 v[12:15], a[90:91], a[10:11], v[12:15]// 000000007F1C: D3F3000C 1C32155A
	v_mfma_f32_16x16x32_fp8_fp8 v[12:15], a[92:93], a[12:13], v[12:15]// 000000007F24: D3F3000C 1C32195C
	buffer_load_dword v43, s[20:23], 0 offen lds               // 000000007F2C: E0511000 8005002B
	s_add_u32 m0, 0x200, s48                                   // 000000007F34: 807C30FF 00000200
	v_mfma_f32_16x16x32_fp8_fp8 v[12:15], a[94:95], a[14:15], v[12:15]// 000000007F3C: D3F3000C 1C321D5E
	v_fma_f32 v56, v8, v6, v56                                 // 000000007F44: D1CB0038 04E20D08
	v_fma_f32 v57, v9, v6, v57                                 // 000000007F4C: D1CB0039 04E60D09
	v_fma_f32 v58, v10, v6, v58                                // 000000007F54: D1CB003A 04EA0D0A
	v_fma_f32 v59, v11, v6, v59                                // 000000007F5C: D1CB003B 04EE0D0B
	v_mul_f32_dpp v4, v25, v38 row_newbcast:0 row_mask:0xf bank_mask:0xf// 000000007F64: 0A084CFA FF015019
	v_mfma_f32_16x16x32_fp8_fp8 v[8:11], a[80:81], a[16:17], 0 // 000000007F6C: D3F30008 1A022150
	buffer_load_dword v44, s[20:23], 0 offen lds               // 000000007F74: E0511000 8005002C
	s_add_u32 m0, 0x300, s48                                   // 000000007F7C: 807C30FF 00000300
	v_mfma_f32_16x16x32_fp8_fp8 v[8:11], a[82:83], a[18:19], v[8:11]// 000000007F84: D3F30008 1C222552
	v_mfma_f32_16x16x32_fp8_fp8 v[8:11], a[84:85], a[20:21], v[8:11]// 000000007F8C: D3F30008 1C222954
	buffer_load_dword v45, s[20:23], 0 offen lds               // 000000007F94: E0511000 8005002D
	s_add_u32 m0, 0x400, s48                                   // 000000007F9C: 807C30FF 00000400
	v_mfma_f32_16x16x32_fp8_fp8 v[8:11], a[86:87], a[22:23], v[8:11]// 000000007FA4: D3F30008 1C222D56
	v_fma_f32 v68, v12, v6, v68                                // 000000007FAC: D1CB0044 05120D0C
	v_fma_f32 v69, v13, v6, v69                                // 000000007FB4: D1CB0045 05160D0D
	v_fma_f32 v70, v14, v6, v70                                // 000000007FBC: D1CB0046 051A0D0E
	v_fma_f32 v71, v15, v6, v71                                // 000000007FC4: D1CB0047 051E0D0F
	v_mfma_f32_16x16x32_fp8_fp8 v[12:15], a[88:89], a[16:17], 0// 000000007FCC: D3F3000C 1A022158
	buffer_load_dword v46, s[20:23], 0 offen lds               // 000000007FD4: E0511000 8005002E
	s_add_u32 m0, 0x500, s48                                   // 000000007FDC: 807C30FF 00000500
	v_mfma_f32_16x16x32_fp8_fp8 v[12:15], a[90:91], a[18:19], v[12:15]// 000000007FE4: D3F3000C 1C32255A
	v_mfma_f32_16x16x32_fp8_fp8 v[12:15], a[92:93], a[20:21], v[12:15]// 000000007FEC: D3F3000C 1C32295C
	buffer_load_dword v47, s[20:23], 0 offen lds               // 000000007FF4: E0511000 8005002F
	s_add_u32 m0, 0, s49                                       // 000000007FFC: 807C3180
	v_mfma_f32_16x16x32_fp8_fp8 v[12:15], a[94:95], a[22:23], v[12:15]// 000000008000: D3F3000C 1C322D5E
	v_fma_f32 v60, v8, v4, v60                                 // 000000008008: D1CB003C 04F20908
	v_fma_f32 v61, v9, v4, v61                                 // 000000008010: D1CB003D 04F60909
	v_fma_f32 v62, v10, v4, v62                                // 000000008018: D1CB003E 04FA090A
	v_fma_f32 v63, v11, v4, v63                                // 000000008020: D1CB003F 04FE090B
	v_fma_f32 v72, v12, v4, v72                                // 000000008028: D1CB0048 0522090C
	v_fma_f32 v73, v13, v4, v73                                // 000000008030: D1CB0049 0526090D
	v_fma_f32 v74, v14, v4, v74                                // 000000008038: D1CB004A 052A090E
	v_fma_f32 v75, v15, v4, v75                                // 000000008040: D1CB004B 052E090F
	buffer_load_dword v33, v30, s[28:31], 0 offen              // 000000008048: E0501000 8007211E
	buffer_load_dword v34, v31, s[28:31], 0 offen              // 000000008050: E0501000 8007221F
	buffer_load_dword v35, v32, s[28:31], 0 offen              // 000000008058: E0501000 80072320
	s_waitcnt vmcnt(14)                                        // 000000008060: BF8C0F7E
	s_barrier                                                  // 000000008064: BF8A0000
	v_mul_f32_dpp v4, v28, v36 row_newbcast:0 row_mask:0xf bank_mask:0xf// 000000008068: 0A0848FA FF01501C
	v_mfma_f32_16x16x32_fp8_fp8 v[8:11], a[48:49], a[0:1], 0   // 000000008070: D3F30008 1A020130
	buffer_load_dword v29, v23, s[32:35], 0 offen              // 000000008078: E0501000 80081D17
	buffer_load_dwordx4 a[80:83], v48, s[84:87], 0 offen       // 000000008080: E05C1000 80955030
	v_mfma_f32_16x16x32_fp8_fp8 v[8:11], a[50:51], a[2:3], v[8:11]// 000000008088: D3F30008 1C220532
	v_mfma_f32_16x16x32_fp8_fp8 v[8:11], a[52:53], a[4:5], v[8:11]// 000000008090: D3F30008 1C220934
	ds_read_b128 a[24:27], v2 offset:12544                     // 000000008098: DBFE3100 18000002
	ds_read_b128 a[28:31], v2 offset:12608                     // 0000000080A0: DBFE3140 1C000002
	v_mfma_f32_16x16x32_fp8_fp8 v[8:11], a[54:55], a[6:7], v[8:11]// 0000000080A8: D3F30008 1C220D36
	v_mfma_f32_16x16x32_fp8_fp8 v[12:15], a[56:57], a[0:1], 0  // 0000000080B0: D3F3000C 1A020138
	buffer_load_dwordx4 a[84:87], v48, s[84:87], 0 offen offset:1024// 0000000080B8: E05C1400 80955430
	v_mfma_f32_16x16x32_fp8_fp8 v[12:15], a[58:59], a[2:3], v[12:15]// 0000000080C0: D3F3000C 1C32053A
	v_mfma_f32_16x16x32_fp8_fp8 v[12:15], a[60:61], a[4:5], v[12:15]// 0000000080C8: D3F3000C 1C32093C
	ds_read_b128 a[32:35], v2 offset:13056                     // 0000000080D0: DBFE3300 20000002
	ds_read_b128 a[36:39], v2 offset:13120                     // 0000000080D8: DBFE3340 24000002
	v_mfma_f32_16x16x32_fp8_fp8 v[12:15], a[62:63], a[6:7], v[12:15]// 0000000080E0: D3F3000C 1C320D3E
	v_fma_f32 v76, v8, v4, v76                                 // 0000000080E8: D1CB004C 05320908
	v_fma_f32 v77, v9, v4, v77                                 // 0000000080F0: D1CB004D 05360909
	v_fma_f32 v78, v10, v4, v78                                // 0000000080F8: D1CB004E 053A090A
	v_fma_f32 v79, v11, v4, v79                                // 000000008100: D1CB004F 053E090B
	v_mul_f32_dpp v6, v28, v37 row_newbcast:0 row_mask:0xf bank_mask:0xf// 000000008108: 0A0C4AFA FF01501C
	v_mfma_f32_16x16x32_fp8_fp8 v[8:11], a[48:49], a[8:9], 0   // 000000008110: D3F30008 1A021130
	buffer_load_dwordx4 a[88:91], v49, s[84:87], 0 offen       // 000000008118: E05C1000 80955831
	v_mfma_f32_16x16x32_fp8_fp8 v[8:11], a[50:51], a[10:11], v[8:11]// 000000008120: D3F30008 1C221532
	v_mfma_f32_16x16x32_fp8_fp8 v[8:11], a[52:53], a[12:13], v[8:11]// 000000008128: D3F30008 1C221934
	ds_read_b128 a[40:43], v2 offset:13568                     // 000000008130: DBFE3500 28000002
	ds_read_b128 a[44:47], v2 offset:13632                     // 000000008138: DBFE3540 2C000002
	v_mfma_f32_16x16x32_fp8_fp8 v[8:11], a[54:55], a[14:15], v[8:11]// 000000008140: D3F30008 1C221D36
	v_fma_f32 v88, v12, v4, v88                                // 000000008148: D1CB0058 0562090C
	v_fma_f32 v89, v13, v4, v89                                // 000000008150: D1CB0059 0566090D
	v_fma_f32 v90, v14, v4, v90                                // 000000008158: D1CB005A 056A090E
	v_fma_f32 v91, v15, v4, v91                                // 000000008160: D1CB005B 056E090F
	v_mfma_f32_16x16x32_fp8_fp8 v[12:15], a[56:57], a[8:9], 0  // 000000008168: D3F3000C 1A021138
	buffer_load_dwordx4 a[92:95], v49, s[84:87], 0 offen offset:1024// 000000008170: E05C1400 80955C31
	v_mfma_f32_16x16x32_fp8_fp8 v[12:15], a[58:59], a[10:11], v[12:15]// 000000008178: D3F3000C 1C32153A
	v_mfma_f32_16x16x32_fp8_fp8 v[12:15], a[60:61], a[12:13], v[12:15]// 000000008180: D3F3000C 1C32193C
	v_mfma_f32_16x16x32_fp8_fp8 v[12:15], a[62:63], a[14:15], v[12:15]// 000000008188: D3F3000C 1C321D3E
	v_fma_f32 v80, v8, v6, v80                                 // 000000008190: D1CB0050 05420D08
	v_fma_f32 v81, v9, v6, v81                                 // 000000008198: D1CB0051 05460D09
	v_fma_f32 v82, v10, v6, v82                                // 0000000081A0: D1CB0052 054A0D0A
	v_fma_f32 v83, v11, v6, v83                                // 0000000081A8: D1CB0053 054E0D0B
	v_mul_f32_dpp v4, v28, v38 row_newbcast:0 row_mask:0xf bank_mask:0xf// 0000000081B0: 0A084CFA FF01501C
	v_mfma_f32_16x16x32_fp8_fp8 v[8:11], a[48:49], a[16:17], 0 // 0000000081B8: D3F30008 1A022130
	s_add_u32 s60, 0x180, s80                                  // 0000000081C0: 803C50FF 00000180
	s_cmp_lt_u32 s60, s81                                      // 0000000081C8: BF0A513C
	s_cselect_b32 s57, s57, 0                                  // 0000000081CC: 85398039
	s_cselect_b32 s3, s3, 0                                    // 0000000081D0: 85038003
	v_mfma_f32_16x16x32_fp8_fp8 v[8:11], a[50:51], a[18:19], v[8:11]// 0000000081D4: D3F30008 1C222532
	s_add_u32 s60, 0x100, s80                                  // 0000000081DC: 803C50FF 00000100
	s_cmp_lt_u32 s60, s81                                      // 0000000081E4: BF0A513C
	s_cselect_b32 s58, s58, 0                                  // 0000000081E8: 853A803A
	v_mfma_f32_16x16x32_fp8_fp8 v[8:11], a[52:53], a[20:21], v[8:11]// 0000000081EC: D3F30008 1C222934
	s_add_u32 s60, 0x100, s80                                  // 0000000081F4: 803C50FF 00000100
	s_cmp_lt_u32 s60, s81                                      // 0000000081FC: BF0A513C
	s_cselect_b32 s83, s83, 0                                  // 000000008200: 85538053
	s_cselect_b32 s4, s4, 0                                    // 000000008204: 85048004
	v_mfma_f32_16x16x32_fp8_fp8 v[8:11], a[54:55], a[22:23], v[8:11]// 000000008208: D3F30008 1C222D36
	s_add_u32 s24, s58, s24                                    // 000000008210: 8018183A
	s_addc_u32 s25, 0, s25                                     // 000000008214: 82191980
	v_fma_f32 v92, v12, v6, v92                                // 000000008218: D1CB005C 05720D0C
	v_fma_f32 v93, v13, v6, v93                                // 000000008220: D1CB005D 05760D0D
	v_fma_f32 v94, v14, v6, v94                                // 000000008228: D1CB005E 057A0D0E
	v_fma_f32 v95, v15, v6, v95                                // 000000008230: D1CB005F 057E0D0F
	v_mfma_f32_16x16x32_fp8_fp8 v[12:15], a[56:57], a[16:17], 0// 000000008238: D3F3000C 1A022138
	s_add_u32 s20, s57, s20                                    // 000000008240: 80141439
	s_addc_u32 s21, 0, s21                                     // 000000008244: 82151580
	s_add_u32 s28, s3, s28                                     // 000000008248: 801C1C03
	s_addc_u32 s29, 0, s29                                     // 00000000824C: 821D1D80
	v_mfma_f32_16x16x32_fp8_fp8 v[12:15], a[58:59], a[18:19], v[12:15]// 000000008250: D3F3000C 1C32253A
	s_add_u32 s84, s83, s84                                    // 000000008258: 80545453
	s_addc_u32 s85, 0, s85                                     // 00000000825C: 82555580
	v_mfma_f32_16x16x32_fp8_fp8 v[12:15], a[60:61], a[20:21], v[12:15]// 000000008260: D3F3000C 1C32293C
	s_add_u32 s32, s4, s32                                     // 000000008268: 80202004
	s_addc_u32 s33, 0, s33                                     // 00000000826C: 82212180
	v_mfma_f32_16x16x32_fp8_fp8 v[12:15], a[62:63], a[22:23], v[12:15]// 000000008270: D3F3000C 1C322D3E
	v_fma_f32 v84, v8, v4, v84                                 // 000000008278: D1CB0054 05520908
	v_fma_f32 v85, v9, v4, v85                                 // 000000008280: D1CB0055 05560909
	v_fma_f32 v86, v10, v4, v86                                // 000000008288: D1CB0056 055A090A
	v_fma_f32 v87, v11, v4, v87                                // 000000008290: D1CB0057 055E090B
	v_fma_f32 v96, v12, v4, v96                                // 000000008298: D1CB0060 0582090C
	v_fma_f32 v97, v13, v4, v97                                // 0000000082A0: D1CB0061 0586090D
	v_fma_f32 v98, v14, v4, v98                                // 0000000082A8: D1CB0062 058A090E
	v_fma_f32 v99, v15, v4, v99                                // 0000000082B0: D1CB0063 058E090F
	s_addk_i32 s80, 0x80                                       // 0000000082B8: B7500080
	s_cmp_lt_i32 s80, s81                                      // 0000000082BC: BF045150
	s_cbranch_scc0 label_175C                                  // 0000000082C0: BF840128
	s_waitcnt vmcnt(14) lgkmcnt(0)                             // 0000000082C4: BF8C007E
	v_mul_f32_dpp v4, v26, v39 row_newbcast:0 row_mask:0xf bank_mask:0xf// 0000000082C8: 0A084EFA FF01501A
	v_mfma_f32_16x16x32_fp8_fp8 v[8:11], a[64:65], a[24:25], 0 // 0000000082D0: D3F30008 1A023140
	buffer_load_dword v24, v22, s[32:35], 0 offen              // 0000000082D8: E0501000 80081816
	buffer_load_dwordx4 a[48:51], v48, s[24:27], 0 offen       // 0000000082E0: E05C1000 80863030
	v_mfma_f32_16x16x32_fp8_fp8 v[8:11], a[66:67], a[26:27], v[8:11]// 0000000082E8: D3F30008 1C223542
	v_mfma_f32_16x16x32_fp8_fp8 v[8:11], a[68:69], a[28:29], v[8:11]// 0000000082F0: D3F30008 1C223944
	v_mfma_f32_16x16x32_fp8_fp8 v[8:11], a[70:71], a[30:31], v[8:11]// 0000000082F8: D3F30008 1C223D46
	v_mfma_f32_16x16x32_fp8_fp8 v[12:15], a[72:73], a[24:25], 0// 000000008300: D3F3000C 1A023148
	buffer_load_dwordx4 a[52:55], v48, s[24:27], 0 offen offset:1024// 000000008308: E05C1400 80863430
	v_mfma_f32_16x16x32_fp8_fp8 v[12:15], a[74:75], a[26:27], v[12:15]// 000000008310: D3F3000C 1C32354A
	v_mfma_f32_16x16x32_fp8_fp8 v[12:15], a[76:77], a[28:29], v[12:15]// 000000008318: D3F3000C 1C32394C
	v_mfma_f32_16x16x32_fp8_fp8 v[12:15], a[78:79], a[30:31], v[12:15]// 000000008320: D3F3000C 1C323D4E
	v_fma_f32 v52, v8, v4, v52                                 // 000000008328: D1CB0034 04D20908
	v_fma_f32 v53, v9, v4, v53                                 // 000000008330: D1CB0035 04D60909
	v_fma_f32 v54, v10, v4, v54                                // 000000008338: D1CB0036 04DA090A
	v_fma_f32 v55, v11, v4, v55                                // 000000008340: D1CB0037 04DE090B
	v_mul_f32_dpp v6, v26, v40 row_newbcast:0 row_mask:0xf bank_mask:0xf// 000000008348: 0A0C50FA FF01501A
	v_mfma_f32_16x16x32_fp8_fp8 v[8:11], a[64:65], a[32:33], 0 // 000000008350: D3F30008 1A024140
	buffer_load_dwordx4 a[56:59], v49, s[24:27], 0 offen       // 000000008358: E05C1000 80863831
	v_mfma_f32_16x16x32_fp8_fp8 v[8:11], a[66:67], a[34:35], v[8:11]// 000000008360: D3F30008 1C224542
	v_mfma_f32_16x16x32_fp8_fp8 v[8:11], a[68:69], a[36:37], v[8:11]// 000000008368: D3F30008 1C224944
	v_mfma_f32_16x16x32_fp8_fp8 v[8:11], a[70:71], a[38:39], v[8:11]// 000000008370: D3F30008 1C224D46
	v_fma_f32 v64, v12, v4, v64                                // 000000008378: D1CB0040 0502090C
	v_fma_f32 v65, v13, v4, v65                                // 000000008380: D1CB0041 0506090D
	v_fma_f32 v66, v14, v4, v66                                // 000000008388: D1CB0042 050A090E
	v_fma_f32 v67, v15, v4, v67                                // 000000008390: D1CB0043 050E090F
	v_mfma_f32_16x16x32_fp8_fp8 v[12:15], a[72:73], a[32:33], 0// 000000008398: D3F3000C 1A024148
	buffer_load_dwordx4 a[60:63], v49, s[24:27], 0 offen offset:1024// 0000000083A0: E05C1400 80863C31
	buffer_load_dword v42, s[20:23], 0 offen lds               // 0000000083A8: E0511000 8005002A
	s_add_u32 m0, 0x100, s49                                   // 0000000083B0: 807C31FF 00000100
	v_mfma_f32_16x16x32_fp8_fp8 v[12:15], a[74:75], a[34:35], v[12:15]// 0000000083B8: D3F3000C 1C32454A
	v_mfma_f32_16x16x32_fp8_fp8 v[12:15], a[76:77], a[36:37], v[12:15]// 0000000083C0: D3F3000C 1C32494C
	buffer_load_dword v43, s[20:23], 0 offen lds               // 0000000083C8: E0511000 8005002B
	s_add_u32 m0, 0x200, s49                                   // 0000000083D0: 807C31FF 00000200
	v_mfma_f32_16x16x32_fp8_fp8 v[12:15], a[78:79], a[38:39], v[12:15]// 0000000083D8: D3F3000C 1C324D4E
	v_fma_f32 v56, v8, v6, v56                                 // 0000000083E0: D1CB0038 04E20D08
	v_fma_f32 v57, v9, v6, v57                                 // 0000000083E8: D1CB0039 04E60D09
	v_fma_f32 v58, v10, v6, v58                                // 0000000083F0: D1CB003A 04EA0D0A
	v_fma_f32 v59, v11, v6, v59                                // 0000000083F8: D1CB003B 04EE0D0B
	v_mul_f32_dpp v4, v26, v41 row_newbcast:0 row_mask:0xf bank_mask:0xf// 000000008400: 0A0852FA FF01501A
	v_mfma_f32_16x16x32_fp8_fp8 v[8:11], a[64:65], a[40:41], 0 // 000000008408: D3F30008 1A025140
	buffer_load_dword v44, s[20:23], 0 offen lds               // 000000008410: E0511000 8005002C
	s_add_u32 m0, 0x300, s49                                   // 000000008418: 807C31FF 00000300
	v_mfma_f32_16x16x32_fp8_fp8 v[8:11], a[66:67], a[42:43], v[8:11]// 000000008420: D3F30008 1C225542
	v_mfma_f32_16x16x32_fp8_fp8 v[8:11], a[68:69], a[44:45], v[8:11]// 000000008428: D3F30008 1C225944
	buffer_load_dword v45, s[20:23], 0 offen lds               // 000000008430: E0511000 8005002D
	s_add_u32 m0, 0x400, s49                                   // 000000008438: 807C31FF 00000400
	v_mfma_f32_16x16x32_fp8_fp8 v[8:11], a[70:71], a[46:47], v[8:11]// 000000008440: D3F30008 1C225D46
	v_fma_f32 v68, v12, v6, v68                                // 000000008448: D1CB0044 05120D0C
	v_fma_f32 v69, v13, v6, v69                                // 000000008450: D1CB0045 05160D0D
	v_fma_f32 v70, v14, v6, v70                                // 000000008458: D1CB0046 051A0D0E
	v_fma_f32 v71, v15, v6, v71                                // 000000008460: D1CB0047 051E0D0F
	v_mfma_f32_16x16x32_fp8_fp8 v[12:15], a[72:73], a[40:41], 0// 000000008468: D3F3000C 1A025148
	buffer_load_dword v46, s[20:23], 0 offen lds               // 000000008470: E0511000 8005002E
	s_add_u32 m0, 0x500, s49                                   // 000000008478: 807C31FF 00000500
	v_mfma_f32_16x16x32_fp8_fp8 v[12:15], a[74:75], a[42:43], v[12:15]// 000000008480: D3F3000C 1C32554A
	v_mfma_f32_16x16x32_fp8_fp8 v[12:15], a[76:77], a[44:45], v[12:15]// 000000008488: D3F3000C 1C32594C
	buffer_load_dword v47, s[20:23], 0 offen lds               // 000000008490: E0511000 8005002F
	s_add_u32 m0, 0, s50                                       // 000000008498: 807C3280
	v_mfma_f32_16x16x32_fp8_fp8 v[12:15], a[78:79], a[46:47], v[12:15]// 00000000849C: D3F3000C 1C325D4E
	v_fma_f32 v60, v8, v4, v60                                 // 0000000084A4: D1CB003C 04F20908
	v_fma_f32 v61, v9, v4, v61                                 // 0000000084AC: D1CB003D 04F60909
	v_fma_f32 v62, v10, v4, v62                                // 0000000084B4: D1CB003E 04FA090A
	v_fma_f32 v63, v11, v4, v63                                // 0000000084BC: D1CB003F 04FE090B
	v_fma_f32 v72, v12, v4, v72                                // 0000000084C4: D1CB0048 0522090C
	v_fma_f32 v73, v13, v4, v73                                // 0000000084CC: D1CB0049 0526090D
	v_fma_f32 v74, v14, v4, v74                                // 0000000084D4: D1CB004A 052A090E
	v_fma_f32 v75, v15, v4, v75                                // 0000000084DC: D1CB004B 052E090F
	buffer_load_dword v36, v30, s[28:31], 0 offen              // 0000000084E4: E0501000 8007241E
	buffer_load_dword v37, v31, s[28:31], 0 offen              // 0000000084EC: E0501000 8007251F
	buffer_load_dword v38, v32, s[28:31], 0 offen              // 0000000084F4: E0501000 80072620
	s_waitcnt vmcnt(14)                                        // 0000000084FC: BF8C0F7E
	s_barrier                                                  // 000000008500: BF8A0000
	v_mul_f32_dpp v4, v29, v39 row_newbcast:0 row_mask:0xf bank_mask:0xf// 000000008504: 0A084EFA FF01501D
	v_mfma_f32_16x16x32_fp8_fp8 v[8:11], a[80:81], a[24:25], 0 // 00000000850C: D3F30008 1A023150
	buffer_load_dword v27, v23, s[32:35], 0 offen              // 000000008514: E0501000 80081B17
	buffer_load_dwordx4 a[64:67], v48, s[84:87], 0 offen       // 00000000851C: E05C1000 80954030
	v_mfma_f32_16x16x32_fp8_fp8 v[8:11], a[82:83], a[26:27], v[8:11]// 000000008524: D3F30008 1C223552
	v_mfma_f32_16x16x32_fp8_fp8 v[8:11], a[84:85], a[28:29], v[8:11]// 00000000852C: D3F30008 1C223954
	ds_read_b128 a[0:3], v2                                    // 000000008534: DBFE0000 00000002
	ds_read_b128 a[4:7], v2 offset:64                          // 00000000853C: DBFE0040 04000002
	v_mfma_f32_16x16x32_fp8_fp8 v[8:11], a[86:87], a[30:31], v[8:11]// 000000008544: D3F30008 1C223D56
	v_mfma_f32_16x16x32_fp8_fp8 v[12:15], a[88:89], a[24:25], 0// 00000000854C: D3F3000C 1A023158
	buffer_load_dwordx4 a[68:71], v48, s[84:87], 0 offen offset:1024// 000000008554: E05C1400 80954430
	v_mfma_f32_16x16x32_fp8_fp8 v[12:15], a[90:91], a[26:27], v[12:15]// 00000000855C: D3F3000C 1C32355A
	v_mfma_f32_16x16x32_fp8_fp8 v[12:15], a[92:93], a[28:29], v[12:15]// 000000008564: D3F3000C 1C32395C
	ds_read_b128 a[8:11], v2 offset:512                        // 00000000856C: DBFE0200 08000002
	ds_read_b128 a[12:15], v2 offset:576                       // 000000008574: DBFE0240 0C000002
	v_mfma_f32_16x16x32_fp8_fp8 v[12:15], a[94:95], a[30:31], v[12:15]// 00000000857C: D3F3000C 1C323D5E
	v_fma_f32 v76, v8, v4, v76                                 // 000000008584: D1CB004C 05320908
	v_fma_f32 v77, v9, v4, v77                                 // 00000000858C: D1CB004D 05360909
	v_fma_f32 v78, v10, v4, v78                                // 000000008594: D1CB004E 053A090A
	v_fma_f32 v79, v11, v4, v79                                // 00000000859C: D1CB004F 053E090B
	v_mul_f32_dpp v6, v29, v40 row_newbcast:0 row_mask:0xf bank_mask:0xf// 0000000085A4: 0A0C50FA FF01501D
	v_mfma_f32_16x16x32_fp8_fp8 v[8:11], a[80:81], a[32:33], 0 // 0000000085AC: D3F30008 1A024150
	buffer_load_dwordx4 a[72:75], v49, s[84:87], 0 offen       // 0000000085B4: E05C1000 80954831
	v_mfma_f32_16x16x32_fp8_fp8 v[8:11], a[82:83], a[34:35], v[8:11]// 0000000085BC: D3F30008 1C224552
	v_mfma_f32_16x16x32_fp8_fp8 v[8:11], a[84:85], a[36:37], v[8:11]// 0000000085C4: D3F30008 1C224954
	ds_read_b128 a[16:19], v2 offset:1024                      // 0000000085CC: DBFE0400 10000002
	ds_read_b128 a[20:23], v2 offset:1088                      // 0000000085D4: DBFE0440 14000002
	v_mfma_f32_16x16x32_fp8_fp8 v[8:11], a[86:87], a[38:39], v[8:11]// 0000000085DC: D3F30008 1C224D56
	v_fma_f32 v88, v12, v4, v88                                // 0000000085E4: D1CB0058 0562090C
	v_fma_f32 v89, v13, v4, v89                                // 0000000085EC: D1CB0059 0566090D
	v_fma_f32 v90, v14, v4, v90                                // 0000000085F4: D1CB005A 056A090E
	v_fma_f32 v91, v15, v4, v91                                // 0000000085FC: D1CB005B 056E090F
	v_mfma_f32_16x16x32_fp8_fp8 v[12:15], a[88:89], a[32:33], 0// 000000008604: D3F3000C 1A024158
	buffer_load_dwordx4 a[76:79], v49, s[84:87], 0 offen offset:1024// 00000000860C: E05C1400 80954C31
	v_mfma_f32_16x16x32_fp8_fp8 v[12:15], a[90:91], a[34:35], v[12:15]// 000000008614: D3F3000C 1C32455A
	v_mfma_f32_16x16x32_fp8_fp8 v[12:15], a[92:93], a[36:37], v[12:15]// 00000000861C: D3F3000C 1C32495C
	v_mfma_f32_16x16x32_fp8_fp8 v[12:15], a[94:95], a[38:39], v[12:15]// 000000008624: D3F3000C 1C324D5E
	v_fma_f32 v80, v8, v6, v80                                 // 00000000862C: D1CB0050 05420D08
	v_fma_f32 v81, v9, v6, v81                                 // 000000008634: D1CB0051 05460D09
	v_fma_f32 v82, v10, v6, v82                                // 00000000863C: D1CB0052 054A0D0A
	v_fma_f32 v83, v11, v6, v83                                // 000000008644: D1CB0053 054E0D0B
	v_mul_f32_dpp v4, v29, v41 row_newbcast:0 row_mask:0xf bank_mask:0xf// 00000000864C: 0A0852FA FF01501D
	v_mfma_f32_16x16x32_fp8_fp8 v[8:11], a[80:81], a[40:41], 0 // 000000008654: D3F30008 1A025150
	s_add_u32 s60, 0x180, s80                                  // 00000000865C: 803C50FF 00000180
	s_cmp_lt_u32 s60, s81                                      // 000000008664: BF0A513C
	s_cselect_b32 s57, s57, 0                                  // 000000008668: 85398039
	s_cselect_b32 s3, s3, 0                                    // 00000000866C: 85038003
	v_mfma_f32_16x16x32_fp8_fp8 v[8:11], a[82:83], a[42:43], v[8:11]// 000000008670: D3F30008 1C225552
	s_add_u32 s60, 0x100, s80                                  // 000000008678: 803C50FF 00000100
	s_cmp_lt_u32 s60, s81                                      // 000000008680: BF0A513C
	s_cselect_b32 s58, s58, 0                                  // 000000008684: 853A803A
	v_mfma_f32_16x16x32_fp8_fp8 v[8:11], a[84:85], a[44:45], v[8:11]// 000000008688: D3F30008 1C225954
	s_add_u32 s60, 0x100, s80                                  // 000000008690: 803C50FF 00000100
	s_cmp_lt_u32 s60, s81                                      // 000000008698: BF0A513C
	s_cselect_b32 s83, s83, 0                                  // 00000000869C: 85538053
	s_cselect_b32 s4, s4, 0                                    // 0000000086A0: 85048004
	v_mfma_f32_16x16x32_fp8_fp8 v[8:11], a[86:87], a[46:47], v[8:11]// 0000000086A4: D3F30008 1C225D56
	s_add_u32 s24, s58, s24                                    // 0000000086AC: 8018183A
	s_addc_u32 s25, 0, s25                                     // 0000000086B0: 82191980
	v_fma_f32 v92, v12, v6, v92                                // 0000000086B4: D1CB005C 05720D0C
	v_fma_f32 v93, v13, v6, v93                                // 0000000086BC: D1CB005D 05760D0D
	v_fma_f32 v94, v14, v6, v94                                // 0000000086C4: D1CB005E 057A0D0E
	v_fma_f32 v95, v15, v6, v95                                // 0000000086CC: D1CB005F 057E0D0F
	v_mfma_f32_16x16x32_fp8_fp8 v[12:15], a[88:89], a[40:41], 0// 0000000086D4: D3F3000C 1A025158
	s_add_u32 s20, s57, s20                                    // 0000000086DC: 80141439
	s_addc_u32 s21, 0, s21                                     // 0000000086E0: 82151580
	s_add_u32 s28, s3, s28                                     // 0000000086E4: 801C1C03
	s_addc_u32 s29, 0, s29                                     // 0000000086E8: 821D1D80
	v_mfma_f32_16x16x32_fp8_fp8 v[12:15], a[90:91], a[42:43], v[12:15]// 0000000086EC: D3F3000C 1C32555A
	s_add_u32 s84, s83, s84                                    // 0000000086F4: 80545453
	s_addc_u32 s85, 0, s85                                     // 0000000086F8: 82555580
	v_mfma_f32_16x16x32_fp8_fp8 v[12:15], a[92:93], a[44:45], v[12:15]// 0000000086FC: D3F3000C 1C32595C
	s_add_u32 s32, s4, s32                                     // 000000008704: 80202004
	s_addc_u32 s33, 0, s33                                     // 000000008708: 82212180
	v_mfma_f32_16x16x32_fp8_fp8 v[12:15], a[94:95], a[46:47], v[12:15]// 00000000870C: D3F3000C 1C325D5E
	v_fma_f32 v84, v8, v4, v84                                 // 000000008714: D1CB0054 05520908
	v_fma_f32 v85, v9, v4, v85                                 // 00000000871C: D1CB0055 05560909
	v_fma_f32 v86, v10, v4, v86                                // 000000008724: D1CB0056 055A090A
	v_fma_f32 v87, v11, v4, v87                                // 00000000872C: D1CB0057 055E090B
	v_fma_f32 v96, v12, v4, v96                                // 000000008734: D1CB0060 0582090C
	v_fma_f32 v97, v13, v4, v97                                // 00000000873C: D1CB0061 0586090D
	v_fma_f32 v98, v14, v4, v98                                // 000000008744: D1CB0062 058A090E
	v_fma_f32 v99, v15, v4, v99                                // 00000000874C: D1CB0063 058E090F
	s_addk_i32 s80, 0x80                                       // 000000008754: B7500080
	s_cmp_lt_i32 s80, s81                                      // 000000008758: BF045150
	s_cbranch_scc0 label_175C                                  // 00000000875C: BF840001
	s_branch label_1071                                        // 000000008760: BF82F915

0000000000008764 <label_175C>:
	s_cmp_eq_u32 s88, 0                                        // 000000008764: BF068058
	s_cbranch_scc0 label_1B90                                  // 000000008768: BF840432
	s_cmp_eq_u32 s89, 0                                        // 00000000876C: BF068059
	s_cbranch_scc1 label_1855                                  // 000000008770: BF8500F5
	v_mov_b32_e32 v8, v1                                       // 000000008774: 7E100301
	v_mov_b32_e32 v9, v1                                       // 000000008778: 7E120301
	s_mov_b32 s60, s6                                          // 00000000877C: BEBC0006
	s_mov_b32 s61, s6                                          // 000000008780: BEBD0006
	v_pk_mul_f32 v[4:5], v[52:53], v[52:53]                    // 000000008784: D3B14004 18026934
	v_pk_mul_f32 v[6:7], v[54:55], v[54:55]                    // 00000000878C: D3B14006 18026D36
	v_pk_fma_f32 v[4:5], v[4:5], s[78:79], v[8:9]              // 000000008794: D3B04004 1C209D04
	v_pk_fma_f32 v[6:7], v[6:7], s[78:79], v[8:9]              // 00000000879C: D3B04006 1C209D06
	v_pk_mul_f32 v[4:5], v[4:5], v[52:53]                      // 0000000087A4: D3B14004 18026904
	v_pk_mul_f32 v[6:7], v[6:7], v[54:55]                      // 0000000087AC: D3B14006 18026D06
	v_pk_mul_f32 v[4:5], v[4:5], s[60:61]                      // 0000000087B4: D3B14004 18007904
	v_pk_mul_f32 v[6:7], v[6:7], s[60:61]                      // 0000000087BC: D3B14006 18007906
	v_exp_f32_e32 v4, v4                                       // 0000000087C4: 7E084104
	v_exp_f32_e32 v5, v5                                       // 0000000087C8: 7E0A4105
	v_exp_f32_e32 v6, v6                                       // 0000000087CC: 7E0C4106
	v_exp_f32_e32 v7, v7                                       // 0000000087D0: 7E0E4107
	v_add_f32_e64 v4, v4, 1.0                                  // 0000000087D4: D1010004 0001E504
	v_add_f32_e64 v5, v5, 1.0                                  // 0000000087DC: D1010005 0001E505
	v_add_f32_e64 v6, v6, 1.0                                  // 0000000087E4: D1010006 0001E506
	v_add_f32_e64 v7, v7, 1.0                                  // 0000000087EC: D1010007 0001E507
	v_rcp_f32_e32 v4, v4                                       // 0000000087F4: 7E084504
	v_rcp_f32_e32 v5, v5                                       // 0000000087F8: 7E0A4505
	v_rcp_f32_e32 v6, v6                                       // 0000000087FC: 7E0C4506
	v_rcp_f32_e32 v7, v7                                       // 000000008800: 7E0E4507
	v_mul_f32_e32 v52, v52, v4                                 // 000000008804: 0A680934
	v_mul_f32_e32 v53, v53, v5                                 // 000000008808: 0A6A0B35
	v_mul_f32_e32 v54, v54, v6                                 // 00000000880C: 0A6C0D36
	v_mul_f32_e32 v55, v55, v7                                 // 000000008810: 0A6E0F37
	v_mul_f32_e32 v52, v52, v76                                // 000000008814: 0A689934
	v_mul_f32_e32 v53, v53, v77                                // 000000008818: 0A6A9B35
	v_mul_f32_e32 v54, v54, v78                                // 00000000881C: 0A6C9D36
	v_mul_f32_e32 v55, v55, v79                                // 000000008820: 0A6E9F37
	v_pk_mul_f32 v[4:5], v[56:57], v[56:57]                    // 000000008824: D3B14004 18027138
	v_pk_mul_f32 v[6:7], v[58:59], v[58:59]                    // 00000000882C: D3B14006 1802753A
	v_pk_fma_f32 v[4:5], v[4:5], s[78:79], v[8:9]              // 000000008834: D3B04004 1C209D04
	v_pk_fma_f32 v[6:7], v[6:7], s[78:79], v[8:9]              // 00000000883C: D3B04006 1C209D06
	v_pk_mul_f32 v[4:5], v[4:5], v[56:57]                      // 000000008844: D3B14004 18027104
	v_pk_mul_f32 v[6:7], v[6:7], v[58:59]                      // 00000000884C: D3B14006 18027506
	v_pk_mul_f32 v[4:5], v[4:5], s[60:61]                      // 000000008854: D3B14004 18007904
	v_pk_mul_f32 v[6:7], v[6:7], s[60:61]                      // 00000000885C: D3B14006 18007906
	v_exp_f32_e32 v4, v4                                       // 000000008864: 7E084104
	v_exp_f32_e32 v5, v5                                       // 000000008868: 7E0A4105
	v_exp_f32_e32 v6, v6                                       // 00000000886C: 7E0C4106
	v_exp_f32_e32 v7, v7                                       // 000000008870: 7E0E4107
	v_add_f32_e64 v4, v4, 1.0                                  // 000000008874: D1010004 0001E504
	v_add_f32_e64 v5, v5, 1.0                                  // 00000000887C: D1010005 0001E505
	v_add_f32_e64 v6, v6, 1.0                                  // 000000008884: D1010006 0001E506
	v_add_f32_e64 v7, v7, 1.0                                  // 00000000888C: D1010007 0001E507
	v_rcp_f32_e32 v4, v4                                       // 000000008894: 7E084504
	v_rcp_f32_e32 v5, v5                                       // 000000008898: 7E0A4505
	v_rcp_f32_e32 v6, v6                                       // 00000000889C: 7E0C4506
	v_rcp_f32_e32 v7, v7                                       // 0000000088A0: 7E0E4507
	v_mul_f32_e32 v56, v56, v4                                 // 0000000088A4: 0A700938
	v_mul_f32_e32 v57, v57, v5                                 // 0000000088A8: 0A720B39
	v_mul_f32_e32 v58, v58, v6                                 // 0000000088AC: 0A740D3A
	v_mul_f32_e32 v59, v59, v7                                 // 0000000088B0: 0A760F3B
	v_mul_f32_e32 v56, v56, v80                                // 0000000088B4: 0A70A138
	v_mul_f32_e32 v57, v57, v81                                // 0000000088B8: 0A72A339
	v_mul_f32_e32 v58, v58, v82                                // 0000000088BC: 0A74A53A
	v_mul_f32_e32 v59, v59, v83                                // 0000000088C0: 0A76A73B
	v_pk_mul_f32 v[4:5], v[60:61], v[60:61]                    // 0000000088C4: D3B14004 1802793C
	v_pk_mul_f32 v[6:7], v[62:63], v[62:63]                    // 0000000088CC: D3B14006 18027D3E
	v_pk_fma_f32 v[4:5], v[4:5], s[78:79], v[8:9]              // 0000000088D4: D3B04004 1C209D04
	v_pk_fma_f32 v[6:7], v[6:7], s[78:79], v[8:9]              // 0000000088DC: D3B04006 1C209D06
	v_pk_mul_f32 v[4:5], v[4:5], v[60:61]                      // 0000000088E4: D3B14004 18027904
	v_pk_mul_f32 v[6:7], v[6:7], v[62:63]                      // 0000000088EC: D3B14006 18027D06
	v_pk_mul_f32 v[4:5], v[4:5], s[60:61]                      // 0000000088F4: D3B14004 18007904
	v_pk_mul_f32 v[6:7], v[6:7], s[60:61]                      // 0000000088FC: D3B14006 18007906
	v_exp_f32_e32 v4, v4                                       // 000000008904: 7E084104
	v_exp_f32_e32 v5, v5                                       // 000000008908: 7E0A4105
	v_exp_f32_e32 v6, v6                                       // 00000000890C: 7E0C4106
	v_exp_f32_e32 v7, v7                                       // 000000008910: 7E0E4107
	v_add_f32_e64 v4, v4, 1.0                                  // 000000008914: D1010004 0001E504
	v_add_f32_e64 v5, v5, 1.0                                  // 00000000891C: D1010005 0001E505
	v_add_f32_e64 v6, v6, 1.0                                  // 000000008924: D1010006 0001E506
	v_add_f32_e64 v7, v7, 1.0                                  // 00000000892C: D1010007 0001E507
	v_rcp_f32_e32 v4, v4                                       // 000000008934: 7E084504
	v_rcp_f32_e32 v5, v5                                       // 000000008938: 7E0A4505
	v_rcp_f32_e32 v6, v6                                       // 00000000893C: 7E0C4506
	v_rcp_f32_e32 v7, v7                                       // 000000008940: 7E0E4507
	v_mul_f32_e32 v60, v60, v4                                 // 000000008944: 0A78093C
	v_mul_f32_e32 v61, v61, v5                                 // 000000008948: 0A7A0B3D
	v_mul_f32_e32 v62, v62, v6                                 // 00000000894C: 0A7C0D3E
	v_mul_f32_e32 v63, v63, v7                                 // 000000008950: 0A7E0F3F
	v_mul_f32_e32 v60, v60, v84                                // 000000008954: 0A78A93C
	v_mul_f32_e32 v61, v61, v85                                // 000000008958: 0A7AAB3D
	v_mul_f32_e32 v62, v62, v86                                // 00000000895C: 0A7CAD3E
	v_mul_f32_e32 v63, v63, v87                                // 000000008960: 0A7EAF3F
	v_pk_mul_f32 v[4:5], v[64:65], v[64:65]                    // 000000008964: D3B14004 18028140
	v_pk_mul_f32 v[6:7], v[66:67], v[66:67]                    // 00000000896C: D3B14006 18028542
	v_pk_fma_f32 v[4:5], v[4:5], s[78:79], v[8:9]              // 000000008974: D3B04004 1C209D04
	v_pk_fma_f32 v[6:7], v[6:7], s[78:79], v[8:9]              // 00000000897C: D3B04006 1C209D06
	v_pk_mul_f32 v[4:5], v[4:5], v[64:65]                      // 000000008984: D3B14004 18028104
	v_pk_mul_f32 v[6:7], v[6:7], v[66:67]                      // 00000000898C: D3B14006 18028506
	v_pk_mul_f32 v[4:5], v[4:5], s[60:61]                      // 000000008994: D3B14004 18007904
	v_pk_mul_f32 v[6:7], v[6:7], s[60:61]                      // 00000000899C: D3B14006 18007906
	v_exp_f32_e32 v4, v4                                       // 0000000089A4: 7E084104
	v_exp_f32_e32 v5, v5                                       // 0000000089A8: 7E0A4105
	v_exp_f32_e32 v6, v6                                       // 0000000089AC: 7E0C4106
	v_exp_f32_e32 v7, v7                                       // 0000000089B0: 7E0E4107
	v_add_f32_e64 v4, v4, 1.0                                  // 0000000089B4: D1010004 0001E504
	v_add_f32_e64 v5, v5, 1.0                                  // 0000000089BC: D1010005 0001E505
	v_add_f32_e64 v6, v6, 1.0                                  // 0000000089C4: D1010006 0001E506
	v_add_f32_e64 v7, v7, 1.0                                  // 0000000089CC: D1010007 0001E507
	v_rcp_f32_e32 v4, v4                                       // 0000000089D4: 7E084504
	v_rcp_f32_e32 v5, v5                                       // 0000000089D8: 7E0A4505
	v_rcp_f32_e32 v6, v6                                       // 0000000089DC: 7E0C4506
	v_rcp_f32_e32 v7, v7                                       // 0000000089E0: 7E0E4507
	v_mul_f32_e32 v64, v64, v4                                 // 0000000089E4: 0A800940
	v_mul_f32_e32 v65, v65, v5                                 // 0000000089E8: 0A820B41
	v_mul_f32_e32 v66, v66, v6                                 // 0000000089EC: 0A840D42
	v_mul_f32_e32 v67, v67, v7                                 // 0000000089F0: 0A860F43
	v_mul_f32_e32 v64, v64, v88                                // 0000000089F4: 0A80B140
	v_mul_f32_e32 v65, v65, v89                                // 0000000089F8: 0A82B341
	v_mul_f32_e32 v66, v66, v90                                // 0000000089FC: 0A84B542
	v_mul_f32_e32 v67, v67, v91                                // 000000008A00: 0A86B743
	v_pk_mul_f32 v[4:5], v[68:69], v[68:69]                    // 000000008A04: D3B14004 18028944
	v_pk_mul_f32 v[6:7], v[70:71], v[70:71]                    // 000000008A0C: D3B14006 18028D46
	v_pk_fma_f32 v[4:5], v[4:5], s[78:79], v[8:9]              // 000000008A14: D3B04004 1C209D04
	v_pk_fma_f32 v[6:7], v[6:7], s[78:79], v[8:9]              // 000000008A1C: D3B04006 1C209D06
	v_pk_mul_f32 v[4:5], v[4:5], v[68:69]                      // 000000008A24: D3B14004 18028904
	v_pk_mul_f32 v[6:7], v[6:7], v[70:71]                      // 000000008A2C: D3B14006 18028D06
	v_pk_mul_f32 v[4:5], v[4:5], s[60:61]                      // 000000008A34: D3B14004 18007904
	v_pk_mul_f32 v[6:7], v[6:7], s[60:61]                      // 000000008A3C: D3B14006 18007906
	v_exp_f32_e32 v4, v4                                       // 000000008A44: 7E084104
	v_exp_f32_e32 v5, v5                                       // 000000008A48: 7E0A4105
	v_exp_f32_e32 v6, v6                                       // 000000008A4C: 7E0C4106
	v_exp_f32_e32 v7, v7                                       // 000000008A50: 7E0E4107
	v_add_f32_e64 v4, v4, 1.0                                  // 000000008A54: D1010004 0001E504
	v_add_f32_e64 v5, v5, 1.0                                  // 000000008A5C: D1010005 0001E505
	v_add_f32_e64 v6, v6, 1.0                                  // 000000008A64: D1010006 0001E506
	v_add_f32_e64 v7, v7, 1.0                                  // 000000008A6C: D1010007 0001E507
	v_rcp_f32_e32 v4, v4                                       // 000000008A74: 7E084504
	v_rcp_f32_e32 v5, v5                                       // 000000008A78: 7E0A4505
	v_rcp_f32_e32 v6, v6                                       // 000000008A7C: 7E0C4506
	v_rcp_f32_e32 v7, v7                                       // 000000008A80: 7E0E4507
	v_mul_f32_e32 v68, v68, v4                                 // 000000008A84: 0A880944
	v_mul_f32_e32 v69, v69, v5                                 // 000000008A88: 0A8A0B45
	v_mul_f32_e32 v70, v70, v6                                 // 000000008A8C: 0A8C0D46
	v_mul_f32_e32 v71, v71, v7                                 // 000000008A90: 0A8E0F47
	v_mul_f32_e32 v68, v68, v92                                // 000000008A94: 0A88B944
	v_mul_f32_e32 v69, v69, v93                                // 000000008A98: 0A8ABB45
	v_mul_f32_e32 v70, v70, v94                                // 000000008A9C: 0A8CBD46
	v_mul_f32_e32 v71, v71, v95                                // 000000008AA0: 0A8EBF47
	v_pk_mul_f32 v[4:5], v[72:73], v[72:73]                    // 000000008AA4: D3B14004 18029148
	v_pk_mul_f32 v[6:7], v[74:75], v[74:75]                    // 000000008AAC: D3B14006 1802954A
	v_pk_fma_f32 v[4:5], v[4:5], s[78:79], v[8:9]              // 000000008AB4: D3B04004 1C209D04
	v_pk_fma_f32 v[6:7], v[6:7], s[78:79], v[8:9]              // 000000008ABC: D3B04006 1C209D06
	v_pk_mul_f32 v[4:5], v[4:5], v[72:73]                      // 000000008AC4: D3B14004 18029104
	v_pk_mul_f32 v[6:7], v[6:7], v[74:75]                      // 000000008ACC: D3B14006 18029506
	v_pk_mul_f32 v[4:5], v[4:5], s[60:61]                      // 000000008AD4: D3B14004 18007904
	v_pk_mul_f32 v[6:7], v[6:7], s[60:61]                      // 000000008ADC: D3B14006 18007906
	v_exp_f32_e32 v4, v4                                       // 000000008AE4: 7E084104
	v_exp_f32_e32 v5, v5                                       // 000000008AE8: 7E0A4105
	v_exp_f32_e32 v6, v6                                       // 000000008AEC: 7E0C4106
	v_exp_f32_e32 v7, v7                                       // 000000008AF0: 7E0E4107
	v_add_f32_e64 v4, v4, 1.0                                  // 000000008AF4: D1010004 0001E504
	v_add_f32_e64 v5, v5, 1.0                                  // 000000008AFC: D1010005 0001E505
	v_add_f32_e64 v6, v6, 1.0                                  // 000000008B04: D1010006 0001E506
	v_add_f32_e64 v7, v7, 1.0                                  // 000000008B0C: D1010007 0001E507
	v_rcp_f32_e32 v4, v4                                       // 000000008B14: 7E084504
	v_rcp_f32_e32 v5, v5                                       // 000000008B18: 7E0A4505
	v_rcp_f32_e32 v6, v6                                       // 000000008B1C: 7E0C4506
	v_rcp_f32_e32 v7, v7                                       // 000000008B20: 7E0E4507
	v_mul_f32_e32 v72, v72, v4                                 // 000000008B24: 0A900948
	v_mul_f32_e32 v73, v73, v5                                 // 000000008B28: 0A920B49
	v_mul_f32_e32 v74, v74, v6                                 // 000000008B2C: 0A940D4A
	v_mul_f32_e32 v75, v75, v7                                 // 000000008B30: 0A960F4B
	v_mul_f32_e32 v72, v72, v96                                // 000000008B34: 0A90C148
	v_mul_f32_e32 v73, v73, v97                                // 000000008B38: 0A92C349
	v_mul_f32_e32 v74, v74, v98                                // 000000008B3C: 0A94C54A
	v_mul_f32_e32 v75, v75, v99                                // 000000008B40: 0A96C74B
	s_branch label_1915                                        // 000000008B44: BF8200C0

0000000000008b48 <label_1855>:
	v_mul_f32_e64 v4, -v52, s6                                 // 000000008B48: D1050004 20000D34
	v_mul_f32_e64 v5, -v53, s6                                 // 000000008B50: D1050005 20000D35
	v_mul_f32_e64 v6, -v54, s6                                 // 000000008B58: D1050006 20000D36
	v_mul_f32_e64 v7, -v55, s6                                 // 000000008B60: D1050007 20000D37
	v_exp_f32_e32 v4, v4                                       // 000000008B68: 7E084104
	v_exp_f32_e32 v5, v5                                       // 000000008B6C: 7E0A4105
	v_exp_f32_e32 v6, v6                                       // 000000008B70: 7E0C4106
	v_exp_f32_e32 v7, v7                                       // 000000008B74: 7E0E4107
	v_add_f32_e64 v4, v4, 1.0                                  // 000000008B78: D1010004 0001E504
	v_add_f32_e64 v5, v5, 1.0                                  // 000000008B80: D1010005 0001E505
	v_add_f32_e64 v6, v6, 1.0                                  // 000000008B88: D1010006 0001E506
	v_add_f32_e64 v7, v7, 1.0                                  // 000000008B90: D1010007 0001E507
	v_rcp_f32_e32 v4, v4                                       // 000000008B98: 7E084504
	v_rcp_f32_e32 v5, v5                                       // 000000008B9C: 7E0A4505
	v_rcp_f32_e32 v6, v6                                       // 000000008BA0: 7E0C4506
	v_rcp_f32_e32 v7, v7                                       // 000000008BA4: 7E0E4507
	v_mul_f32_e32 v52, v52, v4                                 // 000000008BA8: 0A680934
	v_mul_f32_e32 v53, v53, v5                                 // 000000008BAC: 0A6A0B35
	v_mul_f32_e32 v54, v54, v6                                 // 000000008BB0: 0A6C0D36
	v_mul_f32_e32 v55, v55, v7                                 // 000000008BB4: 0A6E0F37
	v_mul_f32_e32 v52, v52, v76                                // 000000008BB8: 0A689934
	v_mul_f32_e32 v53, v53, v77                                // 000000008BBC: 0A6A9B35
	v_mul_f32_e32 v54, v54, v78                                // 000000008BC0: 0A6C9D36
	v_mul_f32_e32 v55, v55, v79                                // 000000008BC4: 0A6E9F37
	v_mul_f32_e64 v4, -v56, s6                                 // 000000008BC8: D1050004 20000D38
	v_mul_f32_e64 v5, -v57, s6                                 // 000000008BD0: D1050005 20000D39
	v_mul_f32_e64 v6, -v58, s6                                 // 000000008BD8: D1050006 20000D3A
	v_mul_f32_e64 v7, -v59, s6                                 // 000000008BE0: D1050007 20000D3B
	v_exp_f32_e32 v4, v4                                       // 000000008BE8: 7E084104
	v_exp_f32_e32 v5, v5                                       // 000000008BEC: 7E0A4105
	v_exp_f32_e32 v6, v6                                       // 000000008BF0: 7E0C4106
	v_exp_f32_e32 v7, v7                                       // 000000008BF4: 7E0E4107
	v_add_f32_e64 v4, v4, 1.0                                  // 000000008BF8: D1010004 0001E504
	v_add_f32_e64 v5, v5, 1.0                                  // 000000008C00: D1010005 0001E505
	v_add_f32_e64 v6, v6, 1.0                                  // 000000008C08: D1010006 0001E506
	v_add_f32_e64 v7, v7, 1.0                                  // 000000008C10: D1010007 0001E507
	v_rcp_f32_e32 v4, v4                                       // 000000008C18: 7E084504
	v_rcp_f32_e32 v5, v5                                       // 000000008C1C: 7E0A4505
	v_rcp_f32_e32 v6, v6                                       // 000000008C20: 7E0C4506
	v_rcp_f32_e32 v7, v7                                       // 000000008C24: 7E0E4507
	v_mul_f32_e32 v56, v56, v4                                 // 000000008C28: 0A700938
	v_mul_f32_e32 v57, v57, v5                                 // 000000008C2C: 0A720B39
	v_mul_f32_e32 v58, v58, v6                                 // 000000008C30: 0A740D3A
	v_mul_f32_e32 v59, v59, v7                                 // 000000008C34: 0A760F3B
	v_mul_f32_e32 v56, v56, v80                                // 000000008C38: 0A70A138
	v_mul_f32_e32 v57, v57, v81                                // 000000008C3C: 0A72A339
	v_mul_f32_e32 v58, v58, v82                                // 000000008C40: 0A74A53A
	v_mul_f32_e32 v59, v59, v83                                // 000000008C44: 0A76A73B
	v_mul_f32_e64 v4, -v60, s6                                 // 000000008C48: D1050004 20000D3C
	v_mul_f32_e64 v5, -v61, s6                                 // 000000008C50: D1050005 20000D3D
	v_mul_f32_e64 v6, -v62, s6                                 // 000000008C58: D1050006 20000D3E
	v_mul_f32_e64 v7, -v63, s6                                 // 000000008C60: D1050007 20000D3F
	v_exp_f32_e32 v4, v4                                       // 000000008C68: 7E084104
	v_exp_f32_e32 v5, v5                                       // 000000008C6C: 7E0A4105
	v_exp_f32_e32 v6, v6                                       // 000000008C70: 7E0C4106
	v_exp_f32_e32 v7, v7                                       // 000000008C74: 7E0E4107
	v_add_f32_e64 v4, v4, 1.0                                  // 000000008C78: D1010004 0001E504
	v_add_f32_e64 v5, v5, 1.0                                  // 000000008C80: D1010005 0001E505
	v_add_f32_e64 v6, v6, 1.0                                  // 000000008C88: D1010006 0001E506
	v_add_f32_e64 v7, v7, 1.0                                  // 000000008C90: D1010007 0001E507
	v_rcp_f32_e32 v4, v4                                       // 000000008C98: 7E084504
	v_rcp_f32_e32 v5, v5                                       // 000000008C9C: 7E0A4505
	v_rcp_f32_e32 v6, v6                                       // 000000008CA0: 7E0C4506
	v_rcp_f32_e32 v7, v7                                       // 000000008CA4: 7E0E4507
	v_mul_f32_e32 v60, v60, v4                                 // 000000008CA8: 0A78093C
	v_mul_f32_e32 v61, v61, v5                                 // 000000008CAC: 0A7A0B3D
	v_mul_f32_e32 v62, v62, v6                                 // 000000008CB0: 0A7C0D3E
	v_mul_f32_e32 v63, v63, v7                                 // 000000008CB4: 0A7E0F3F
	v_mul_f32_e32 v60, v60, v84                                // 000000008CB8: 0A78A93C
	v_mul_f32_e32 v61, v61, v85                                // 000000008CBC: 0A7AAB3D
	v_mul_f32_e32 v62, v62, v86                                // 000000008CC0: 0A7CAD3E
	v_mul_f32_e32 v63, v63, v87                                // 000000008CC4: 0A7EAF3F
	v_mul_f32_e64 v4, -v64, s6                                 // 000000008CC8: D1050004 20000D40
	v_mul_f32_e64 v5, -v65, s6                                 // 000000008CD0: D1050005 20000D41
	v_mul_f32_e64 v6, -v66, s6                                 // 000000008CD8: D1050006 20000D42
	v_mul_f32_e64 v7, -v67, s6                                 // 000000008CE0: D1050007 20000D43
	v_exp_f32_e32 v4, v4                                       // 000000008CE8: 7E084104
	v_exp_f32_e32 v5, v5                                       // 000000008CEC: 7E0A4105
	v_exp_f32_e32 v6, v6                                       // 000000008CF0: 7E0C4106
	v_exp_f32_e32 v7, v7                                       // 000000008CF4: 7E0E4107
	v_add_f32_e64 v4, v4, 1.0                                  // 000000008CF8: D1010004 0001E504
	v_add_f32_e64 v5, v5, 1.0                                  // 000000008D00: D1010005 0001E505
	v_add_f32_e64 v6, v6, 1.0                                  // 000000008D08: D1010006 0001E506
	v_add_f32_e64 v7, v7, 1.0                                  // 000000008D10: D1010007 0001E507
	v_rcp_f32_e32 v4, v4                                       // 000000008D18: 7E084504
	v_rcp_f32_e32 v5, v5                                       // 000000008D1C: 7E0A4505
	v_rcp_f32_e32 v6, v6                                       // 000000008D20: 7E0C4506
	v_rcp_f32_e32 v7, v7                                       // 000000008D24: 7E0E4507
	v_mul_f32_e32 v64, v64, v4                                 // 000000008D28: 0A800940
	v_mul_f32_e32 v65, v65, v5                                 // 000000008D2C: 0A820B41
	v_mul_f32_e32 v66, v66, v6                                 // 000000008D30: 0A840D42
	v_mul_f32_e32 v67, v67, v7                                 // 000000008D34: 0A860F43
	v_mul_f32_e32 v64, v64, v88                                // 000000008D38: 0A80B140
	v_mul_f32_e32 v65, v65, v89                                // 000000008D3C: 0A82B341
	v_mul_f32_e32 v66, v66, v90                                // 000000008D40: 0A84B542
	v_mul_f32_e32 v67, v67, v91                                // 000000008D44: 0A86B743
	v_mul_f32_e64 v4, -v68, s6                                 // 000000008D48: D1050004 20000D44
	v_mul_f32_e64 v5, -v69, s6                                 // 000000008D50: D1050005 20000D45
	v_mul_f32_e64 v6, -v70, s6                                 // 000000008D58: D1050006 20000D46
	v_mul_f32_e64 v7, -v71, s6                                 // 000000008D60: D1050007 20000D47
	v_exp_f32_e32 v4, v4                                       // 000000008D68: 7E084104
	v_exp_f32_e32 v5, v5                                       // 000000008D6C: 7E0A4105
	v_exp_f32_e32 v6, v6                                       // 000000008D70: 7E0C4106
	v_exp_f32_e32 v7, v7                                       // 000000008D74: 7E0E4107
	v_add_f32_e64 v4, v4, 1.0                                  // 000000008D78: D1010004 0001E504
	v_add_f32_e64 v5, v5, 1.0                                  // 000000008D80: D1010005 0001E505
	v_add_f32_e64 v6, v6, 1.0                                  // 000000008D88: D1010006 0001E506
	v_add_f32_e64 v7, v7, 1.0                                  // 000000008D90: D1010007 0001E507
	v_rcp_f32_e32 v4, v4                                       // 000000008D98: 7E084504
	v_rcp_f32_e32 v5, v5                                       // 000000008D9C: 7E0A4505
	v_rcp_f32_e32 v6, v6                                       // 000000008DA0: 7E0C4506
	v_rcp_f32_e32 v7, v7                                       // 000000008DA4: 7E0E4507
	v_mul_f32_e32 v68, v68, v4                                 // 000000008DA8: 0A880944
	v_mul_f32_e32 v69, v69, v5                                 // 000000008DAC: 0A8A0B45
	v_mul_f32_e32 v70, v70, v6                                 // 000000008DB0: 0A8C0D46
	v_mul_f32_e32 v71, v71, v7                                 // 000000008DB4: 0A8E0F47
	v_mul_f32_e32 v68, v68, v92                                // 000000008DB8: 0A88B944
	v_mul_f32_e32 v69, v69, v93                                // 000000008DBC: 0A8ABB45
	v_mul_f32_e32 v70, v70, v94                                // 000000008DC0: 0A8CBD46
	v_mul_f32_e32 v71, v71, v95                                // 000000008DC4: 0A8EBF47
	v_mul_f32_e64 v4, -v72, s6                                 // 000000008DC8: D1050004 20000D48
	v_mul_f32_e64 v5, -v73, s6                                 // 000000008DD0: D1050005 20000D49
	v_mul_f32_e64 v6, -v74, s6                                 // 000000008DD8: D1050006 20000D4A
	v_mul_f32_e64 v7, -v75, s6                                 // 000000008DE0: D1050007 20000D4B
	v_exp_f32_e32 v4, v4                                       // 000000008DE8: 7E084104
	v_exp_f32_e32 v5, v5                                       // 000000008DEC: 7E0A4105
	v_exp_f32_e32 v6, v6                                       // 000000008DF0: 7E0C4106
	v_exp_f32_e32 v7, v7                                       // 000000008DF4: 7E0E4107
	v_add_f32_e64 v4, v4, 1.0                                  // 000000008DF8: D1010004 0001E504
	v_add_f32_e64 v5, v5, 1.0                                  // 000000008E00: D1010005 0001E505
	v_add_f32_e64 v6, v6, 1.0                                  // 000000008E08: D1010006 0001E506
	v_add_f32_e64 v7, v7, 1.0                                  // 000000008E10: D1010007 0001E507
	v_rcp_f32_e32 v4, v4                                       // 000000008E18: 7E084504
	v_rcp_f32_e32 v5, v5                                       // 000000008E1C: 7E0A4505
	v_rcp_f32_e32 v6, v6                                       // 000000008E20: 7E0C4506
	v_rcp_f32_e32 v7, v7                                       // 000000008E24: 7E0E4507
	v_mul_f32_e32 v72, v72, v4                                 // 000000008E28: 0A900948
	v_mul_f32_e32 v73, v73, v5                                 // 000000008E2C: 0A920B49
	v_mul_f32_e32 v74, v74, v6                                 // 000000008E30: 0A940D4A
	v_mul_f32_e32 v75, v75, v7                                 // 000000008E34: 0A960F4B
	v_mul_f32_e32 v72, v72, v96                                // 000000008E38: 0A90C148
	v_mul_f32_e32 v73, v73, v97                                // 000000008E3C: 0A92C349
	v_mul_f32_e32 v74, v74, v98                                // 000000008E40: 0A94C54A
	v_mul_f32_e32 v75, v75, v99                                // 000000008E44: 0A96C74B

0000000000008e48 <label_1915>:
	s_cmp_eq_u32 s7, 0                                         // 000000008E48: BF068007
	s_cbranch_scc0 label_1922                                  // 000000008E4C: BF84000B
	v_and_b32_e32 v4, 15, v0                                   // 000000008E50: 2608008F
	v_lshlrev_b32_e32 v4, 2, v4                                // 000000008E54: 24080882
	buffer_load_dword v30, v4, s[12:15], 0 offen               // 000000008E58: E0501000 80031E04
	v_add_u32_e32 v4, 64, v4                                   // 000000008E60: 680808C0
	buffer_load_dword v31, v4, s[12:15], 0 offen               // 000000008E64: E0501000 80031F04
	v_add_u32_e32 v4, 64, v4                                   // 000000008E6C: 680808C0
	buffer_load_dword v32, v4, s[12:15], 0 offen               // 000000008E70: E0501000 80032004
	v_add_u32_e32 v4, 64, v4                                   // 000000008E78: 680808C0

0000000000008e7c <label_1922>:
	v_lshlrev_b32_e32 v4, 2, v0                                // 000000008E7C: 24080082
	s_mul_i32 s60, 0x100, s7                                   // 000000008E80: 923C07FF 00000100
	v_add_u32_e32 v79, s60, v4                                 // 000000008E88: 689E083C
	v_and_b32_e32 v4, 15, v0                                   // 000000008E8C: 2608008F
	v_lshlrev_b32_e32 v80, 2, v4                               // 000000008E90: 24A00882
	s_waitcnt lgkmcnt(0)                                       // 000000008E94: BF8CC07F
	s_barrier                                                  // 000000008E98: BF8A0000
	v_mov_b32_e32 v76, 0x358637bd                              // 000000008E9C: 7E9802FF 358637BD
	v_max3_f32 v76, |v52|, |v53|, v76                          // 000000008EA4: D1D3034C 05326B34
	v_max3_f32 v76, |v54|, |v55|, v76                          // 000000008EAC: D1D3034C 05326F36
	v_max3_f32 v76, |v64|, |v65|, v76                          // 000000008EB4: D1D3034C 05328340
	v_max3_f32 v76, |v66|, |v67|, v76                          // 000000008EBC: D1D3034C 05328742
	ds_write_b32 v79, v76                                      // 000000008EC4: D81A0000 00004C4F
	s_waitcnt lgkmcnt(0)                                       // 000000008ECC: BF8CC07F
	s_barrier                                                  // 000000008ED0: BF8A0000
	ds_read_b32 v4, v80                                        // 000000008ED4: D86C0000 04000050
	ds_read_b32 v5, v80 offset:64                              // 000000008EDC: D86C0040 05000050
	ds_read_b32 v6, v80 offset:128                             // 000000008EE4: D86C0080 06000050
	ds_read_b32 v7, v80 offset:192                             // 000000008EEC: D86C00C0 07000050
	ds_read_b32 v8, v80 offset:256                             // 000000008EF4: D86C0100 08000050
	ds_read_b32 v9, v80 offset:320                             // 000000008EFC: D86C0140 09000050
	ds_read_b32 v10, v80 offset:384                            // 000000008F04: D86C0180 0A000050
	ds_read_b32 v11, v80 offset:448                            // 000000008F0C: D86C01C0 0B000050
	ds_read_b32 v12, v80 offset:512                            // 000000008F14: D86C0200 0C000050
	ds_read_b32 v13, v80 offset:576                            // 000000008F1C: D86C0240 0D000050
	ds_read_b32 v14, v80 offset:640                            // 000000008F24: D86C0280 0E000050
	ds_read_b32 v15, v80 offset:704                            // 000000008F2C: D86C02C0 0F000050
	ds_read_b32 v16, v80 offset:768                            // 000000008F34: D86C0300 10000050
	ds_read_b32 v17, v80 offset:832                            // 000000008F3C: D86C0340 11000050
	ds_read_b32 v18, v80 offset:896                            // 000000008F44: D86C0380 12000050
	ds_read_b32 v19, v80 offset:960                            // 000000008F4C: D86C03C0 13000050
	s_waitcnt lgkmcnt(0)                                       // 000000008F54: BF8CC07F
	s_barrier                                                  // 000000008F58: BF8A0000
	v_max3_f32 v76, |v4|, |v5|, v76                            // 000000008F5C: D1D3034C 05320B04
	v_max3_f32 v76, |v6|, |v7|, v76                            // 000000008F64: D1D3034C 05320F06
	v_max3_f32 v76, |v8|, |v9|, v76                            // 000000008F6C: D1D3034C 05321308
	v_max3_f32 v76, |v10|, |v11|, v76                          // 000000008F74: D1D3034C 0532170A
	v_max3_f32 v76, |v12|, |v13|, v76                          // 000000008F7C: D1D3034C 05321B0C
	v_max3_f32 v76, |v14|, |v15|, v76                          // 000000008F84: D1D3034C 05321F0E
	v_max3_f32 v76, |v16|, |v17|, v76                          // 000000008F8C: D1D3034C 05322310
	v_max3_f32 v76, |v18|, |v19|, v76                          // 000000008F94: D1D3034C 05322712
	v_rcp_f32_e32 v76, v76                                     // 000000008F9C: 7E98454C
	v_mov_b32_e32 v4, 0x43700000                               // 000000008FA0: 7E0802FF 43700000
	v_mul_f32_e32 v76, v4, v76                                 // 000000008FA8: 0A989904
	v_mov_b32_e32 v4, v76                                      // 000000008FAC: 7E08034C
	v_mov_b32_e32 v5, v4                                       // 000000008FB0: 7E0A0304
	v_pk_mul_f32 v[52:53], v[4:5], v[52:53]                    // 000000008FB4: D3B14034 18026904
	v_pk_mul_f32 v[54:55], v[4:5], v[54:55]                    // 000000008FBC: D3B14036 18026D04
	v_cvt_pk_fp8_f32 v52, v52, v53                             // 000000008FC4: D2A20034 00026B34
	v_cvt_pk_fp8_f32 v52, v54, v55 op_sel:[0,0,1]              // 000000008FCC: D2A24034 00026F36
	v_pk_mul_f32 v[64:65], v[4:5], v[64:65]                    // 000000008FD4: D3B14040 18028104
	v_pk_mul_f32 v[66:67], v[4:5], v[66:67]                    // 000000008FDC: D3B14042 18028504
	v_cvt_pk_fp8_f32 v64, v64, v65                             // 000000008FE4: D2A20040 00028340
	v_cvt_pk_fp8_f32 v64, v66, v67 op_sel:[0,0,1]              // 000000008FEC: D2A24040 00028742
	v_rcp_f32_e32 v76, v76                                     // 000000008FF4: 7E98454C
	v_mov_b32_e32 v77, 0x358637bd                              // 000000008FF8: 7E9A02FF 358637BD
	v_max3_f32 v77, |v56|, |v57|, v77                          // 000000009000: D1D3034D 05367338
	v_max3_f32 v77, |v58|, |v59|, v77                          // 000000009008: D1D3034D 0536773A
	v_max3_f32 v77, |v68|, |v69|, v77                          // 000000009010: D1D3034D 05368B44
	v_max3_f32 v77, |v70|, |v71|, v77                          // 000000009018: D1D3034D 05368F46
	ds_write_b32 v79, v77                                      // 000000009020: D81A0000 00004D4F
	s_waitcnt lgkmcnt(0)                                       // 000000009028: BF8CC07F
	s_barrier                                                  // 00000000902C: BF8A0000
	ds_read_b32 v4, v80                                        // 000000009030: D86C0000 04000050
	ds_read_b32 v5, v80 offset:64                              // 000000009038: D86C0040 05000050
	ds_read_b32 v6, v80 offset:128                             // 000000009040: D86C0080 06000050
	ds_read_b32 v7, v80 offset:192                             // 000000009048: D86C00C0 07000050
	ds_read_b32 v8, v80 offset:256                             // 000000009050: D86C0100 08000050
	ds_read_b32 v9, v80 offset:320                             // 000000009058: D86C0140 09000050
	ds_read_b32 v10, v80 offset:384                            // 000000009060: D86C0180 0A000050
	ds_read_b32 v11, v80 offset:448                            // 000000009068: D86C01C0 0B000050
	ds_read_b32 v12, v80 offset:512                            // 000000009070: D86C0200 0C000050
	ds_read_b32 v13, v80 offset:576                            // 000000009078: D86C0240 0D000050
	ds_read_b32 v14, v80 offset:640                            // 000000009080: D86C0280 0E000050
	ds_read_b32 v15, v80 offset:704                            // 000000009088: D86C02C0 0F000050
	ds_read_b32 v16, v80 offset:768                            // 000000009090: D86C0300 10000050
	ds_read_b32 v17, v80 offset:832                            // 000000009098: D86C0340 11000050
	ds_read_b32 v18, v80 offset:896                            // 0000000090A0: D86C0380 12000050
	ds_read_b32 v19, v80 offset:960                            // 0000000090A8: D86C03C0 13000050
	s_waitcnt lgkmcnt(0)                                       // 0000000090B0: BF8CC07F
	s_barrier                                                  // 0000000090B4: BF8A0000
	v_max3_f32 v77, |v4|, |v5|, v77                            // 0000000090B8: D1D3034D 05360B04
	v_max3_f32 v77, |v6|, |v7|, v77                            // 0000000090C0: D1D3034D 05360F06
	v_max3_f32 v77, |v8|, |v9|, v77                            // 0000000090C8: D1D3034D 05361308
	v_max3_f32 v77, |v10|, |v11|, v77                          // 0000000090D0: D1D3034D 0536170A
	v_max3_f32 v77, |v12|, |v13|, v77                          // 0000000090D8: D1D3034D 05361B0C
	v_max3_f32 v77, |v14|, |v15|, v77                          // 0000000090E0: D1D3034D 05361F0E
	v_max3_f32 v77, |v16|, |v17|, v77                          // 0000000090E8: D1D3034D 05362310
	v_max3_f32 v77, |v18|, |v19|, v77                          // 0000000090F0: D1D3034D 05362712
	v_rcp_f32_e32 v77, v77                                     // 0000000090F8: 7E9A454D
	v_mov_b32_e32 v4, 0x43700000                               // 0000000090FC: 7E0802FF 43700000
	v_mul_f32_e32 v77, v4, v77                                 // 000000009104: 0A9A9B04
	v_mov_b32_e32 v4, v77                                      // 000000009108: 7E08034D
	v_mov_b32_e32 v5, v4                                       // 00000000910C: 7E0A0304
	v_pk_mul_f32 v[56:57], v[4:5], v[56:57]                    // 000000009110: D3B14038 18027104
	v_pk_mul_f32 v[58:59], v[4:5], v[58:59]                    // 000000009118: D3B1403A 18027504
	v_cvt_pk_fp8_f32 v56, v56, v57                             // 000000009120: D2A20038 00027338
	v_cvt_pk_fp8_f32 v56, v58, v59 op_sel:[0,0,1]              // 000000009128: D2A24038 0002773A
	v_pk_mul_f32 v[68:69], v[4:5], v[68:69]                    // 000000009130: D3B14044 18028904
	v_pk_mul_f32 v[70:71], v[4:5], v[70:71]                    // 000000009138: D3B14046 18028D04
	v_cvt_pk_fp8_f32 v68, v68, v69                             // 000000009140: D2A20044 00028B44
	v_cvt_pk_fp8_f32 v68, v70, v71 op_sel:[0,0,1]              // 000000009148: D2A24044 00028F46
	v_rcp_f32_e32 v77, v77                                     // 000000009150: 7E9A454D
	v_mov_b32_e32 v78, 0x358637bd                              // 000000009154: 7E9C02FF 358637BD
	v_max3_f32 v78, |v60|, |v61|, v78                          // 00000000915C: D1D3034E 053A7B3C
	v_max3_f32 v78, |v62|, |v63|, v78                          // 000000009164: D1D3034E 053A7F3E
	v_max3_f32 v78, |v72|, |v73|, v78                          // 00000000916C: D1D3034E 053A9348
	v_max3_f32 v78, |v74|, |v75|, v78                          // 000000009174: D1D3034E 053A974A
	ds_write_b32 v79, v78                                      // 00000000917C: D81A0000 00004E4F
	s_waitcnt lgkmcnt(0)                                       // 000000009184: BF8CC07F
	s_barrier                                                  // 000000009188: BF8A0000
	ds_read_b32 v4, v80                                        // 00000000918C: D86C0000 04000050
	ds_read_b32 v5, v80 offset:64                              // 000000009194: D86C0040 05000050
	ds_read_b32 v6, v80 offset:128                             // 00000000919C: D86C0080 06000050
	ds_read_b32 v7, v80 offset:192                             // 0000000091A4: D86C00C0 07000050
	ds_read_b32 v8, v80 offset:256                             // 0000000091AC: D86C0100 08000050
	ds_read_b32 v9, v80 offset:320                             // 0000000091B4: D86C0140 09000050
	ds_read_b32 v10, v80 offset:384                            // 0000000091BC: D86C0180 0A000050
	ds_read_b32 v11, v80 offset:448                            // 0000000091C4: D86C01C0 0B000050
	ds_read_b32 v12, v80 offset:512                            // 0000000091CC: D86C0200 0C000050
	ds_read_b32 v13, v80 offset:576                            // 0000000091D4: D86C0240 0D000050
	ds_read_b32 v14, v80 offset:640                            // 0000000091DC: D86C0280 0E000050
	ds_read_b32 v15, v80 offset:704                            // 0000000091E4: D86C02C0 0F000050
	ds_read_b32 v16, v80 offset:768                            // 0000000091EC: D86C0300 10000050
	ds_read_b32 v17, v80 offset:832                            // 0000000091F4: D86C0340 11000050
	ds_read_b32 v18, v80 offset:896                            // 0000000091FC: D86C0380 12000050
	ds_read_b32 v19, v80 offset:960                            // 000000009204: D86C03C0 13000050
	s_waitcnt lgkmcnt(0)                                       // 00000000920C: BF8CC07F
	s_barrier                                                  // 000000009210: BF8A0000
	v_max3_f32 v78, |v4|, |v5|, v78                            // 000000009214: D1D3034E 053A0B04
	v_max3_f32 v78, |v6|, |v7|, v78                            // 00000000921C: D1D3034E 053A0F06
	v_max3_f32 v78, |v8|, |v9|, v78                            // 000000009224: D1D3034E 053A1308
	v_max3_f32 v78, |v10|, |v11|, v78                          // 00000000922C: D1D3034E 053A170A
	v_max3_f32 v78, |v12|, |v13|, v78                          // 000000009234: D1D3034E 053A1B0C
	v_max3_f32 v78, |v14|, |v15|, v78                          // 00000000923C: D1D3034E 053A1F0E
	v_max3_f32 v78, |v16|, |v17|, v78                          // 000000009244: D1D3034E 053A2310
	v_max3_f32 v78, |v18|, |v19|, v78                          // 00000000924C: D1D3034E 053A2712
	v_rcp_f32_e32 v78, v78                                     // 000000009254: 7E9C454E
	v_mov_b32_e32 v4, 0x43700000                               // 000000009258: 7E0802FF 43700000
	v_mul_f32_e32 v78, v4, v78                                 // 000000009260: 0A9C9D04
	v_mov_b32_e32 v4, v78                                      // 000000009264: 7E08034E
	v_mov_b32_e32 v5, v4                                       // 000000009268: 7E0A0304
	v_pk_mul_f32 v[60:61], v[4:5], v[60:61]                    // 00000000926C: D3B1403C 18027904
	v_pk_mul_f32 v[62:63], v[4:5], v[62:63]                    // 000000009274: D3B1403E 18027D04
	v_cvt_pk_fp8_f32 v60, v60, v61                             // 00000000927C: D2A2003C 00027B3C
	v_cvt_pk_fp8_f32 v60, v62, v63 op_sel:[0,0,1]              // 000000009284: D2A2403C 00027F3E
	v_pk_mul_f32 v[72:73], v[4:5], v[72:73]                    // 00000000928C: D3B14048 18029104
	v_pk_mul_f32 v[74:75], v[4:5], v[74:75]                    // 000000009294: D3B1404A 18029504
	v_cvt_pk_fp8_f32 v72, v72, v73                             // 00000000929C: D2A20048 00029348
	v_cvt_pk_fp8_f32 v72, v74, v75 op_sel:[0,0,1]              // 0000000092A4: D2A24048 0002974A
	v_rcp_f32_e32 v78, v78                                     // 0000000092AC: 7E9C454E
	v_lshrrev_b32_e32 v4, 5, v0                                // 0000000092B0: 20080085
	v_mul_lo_u32 v20, 34, v4                                   // 0000000092B4: D2850014 000208A2
	v_and_b32_e32 v4, 31, v0                                   // 0000000092BC: 2608009F
	v_lshrrev_b32_e32 v5, 4, v4                                // 0000000092C0: 200A0884
	v_add_u32_e32 v20, v5, v20                                 // 0000000092C4: 68282905
	v_and_b32_e32 v4, 15, v0                                   // 0000000092C8: 2608008F
	v_mul_lo_u32 v5, 2, v4                                     // 0000000092CC: D2850005 00020882
	v_add_u32_e32 v20, v5, v20                                 // 0000000092D4: 68282905
	s_mul_i32 s60, s7, 0x44                                    // 0000000092D8: 923CFF07 00000044
	v_add_u32_e32 v20, s60, v20                                // 0000000092E0: 6828283C
	v_lshlrev_b32_e32 v20, 2, v20                              // 0000000092E4: 24282882
	ds_write_b32 v20, v52                                      // 0000000092E8: D81A0000 00003414
	ds_write_b32 v20, v56 offset:2176                          // 0000000092F0: D81A0880 00003814
	ds_write_b32 v20, v60 offset:4352                          // 0000000092F8: D81A1100 00003C14
	ds_write_b32 v20, v64 offset:1088                          // 000000009300: D81A0440 00004014
	ds_write_b32 v20, v68 offset:3264                          // 000000009308: D81A0CC0 00004414
	ds_write_b32 v20, v72 offset:5440                          // 000000009310: D81A1540 00004814
	v_lshrrev_b32_e32 v4, 5, v0                                // 000000009318: 20080085
	v_xor_b32_e32 v5, 1, v4                                    // 00000000931C: 2A0A0881
	s_mul_i32 s60, s65, 1                                      // 000000009320: 923C8141
	s_cmp_eq_u32 s88, 0                                        // 000000009324: BF068058
	s_cselect_b32 s61, 1, 8                                    // 000000009328: 853D8881
	s_mul_i32 s60, s61, s60                                    // 00000000932C: 923C3C3D
	v_readlane_b32 s82, v3, 0                                  // 000000009330: D2890052 00010103
	s_lshr_b32 s61, s82, 24                                    // 000000009338: 8F3D9852
	s_and_b32 s82, s82, 0xffffff                               // 00000000933C: 8652FF52 00FFFFFF
	s_mul_i32 s82, s82, s71                                    // 000000009344: 92524752
	s_mul_i32 s61, s60, s61                                    // 000000009348: 923D3D3C
	s_add_u32 s82, s82, s61                                    // 00000000934C: 80523D52
	v_mul_lo_u32 v6, v5, s82                                   // 000000009350: D2850006 0000A505
	v_readlane_b32 s82, v3, 1                                  // 000000009358: D2890052 00010303
	s_lshr_b32 s61, s82, 24                                    // 000000009360: 8F3D9852
	s_and_b32 s82, s82, 0xffffff                               // 000000009364: 8652FF52 00FFFFFF
	s_mul_i32 s82, s82, s71                                    // 00000000936C: 92524752
	s_mul_i32 s61, s60, s61                                    // 000000009370: 923D3D3C
	s_add_u32 s82, s82, s61                                    // 000000009374: 80523D52
	v_mul_lo_u32 v7, v4, s82                                   // 000000009378: D2850007 0000A504
	v_add_u32_e32 v42, v6, v7                                  // 000000009380: 68540F06
	v_readlane_b32 s82, v3, 2                                  // 000000009384: D2890052 00010503
	s_lshr_b32 s61, s82, 24                                    // 00000000938C: 8F3D9852
	s_and_b32 s82, s82, 0xffffff                               // 000000009390: 8652FF52 00FFFFFF
	s_mul_i32 s82, s82, s71                                    // 000000009398: 92524752
	s_mul_i32 s61, s60, s61                                    // 00000000939C: 923D3D3C
	s_add_u32 s82, s82, s61                                    // 0000000093A0: 80523D52
	v_mul_lo_u32 v6, v5, s82                                   // 0000000093A4: D2850006 0000A505
	v_readlane_b32 s82, v3, 3                                  // 0000000093AC: D2890052 00010703
	s_lshr_b32 s61, s82, 24                                    // 0000000093B4: 8F3D9852
	s_and_b32 s82, s82, 0xffffff                               // 0000000093B8: 8652FF52 00FFFFFF
	s_mul_i32 s82, s82, s71                                    // 0000000093C0: 92524752
	s_mul_i32 s61, s60, s61                                    // 0000000093C4: 923D3D3C
	s_add_u32 s82, s82, s61                                    // 0000000093C8: 80523D52
	v_mul_lo_u32 v7, v4, s82                                   // 0000000093CC: D2850007 0000A504
	v_add_u32_e32 v43, v6, v7                                  // 0000000093D4: 68560F06
	v_readlane_b32 s82, v3, 4                                  // 0000000093D8: D2890052 00010903
	s_lshr_b32 s61, s82, 24                                    // 0000000093E0: 8F3D9852
	s_and_b32 s82, s82, 0xffffff                               // 0000000093E4: 8652FF52 00FFFFFF
	s_mul_i32 s82, s82, s71                                    // 0000000093EC: 92524752
	s_mul_i32 s61, s60, s61                                    // 0000000093F0: 923D3D3C
	s_add_u32 s82, s82, s61                                    // 0000000093F4: 80523D52
	v_mul_lo_u32 v6, v5, s82                                   // 0000000093F8: D2850006 0000A505
	v_readlane_b32 s82, v3, 5                                  // 000000009400: D2890052 00010B03
	s_lshr_b32 s61, s82, 24                                    // 000000009408: 8F3D9852
	s_and_b32 s82, s82, 0xffffff                               // 00000000940C: 8652FF52 00FFFFFF
	s_mul_i32 s82, s82, s71                                    // 000000009414: 92524752
	s_mul_i32 s61, s60, s61                                    // 000000009418: 923D3D3C
	s_add_u32 s82, s82, s61                                    // 00000000941C: 80523D52
	v_mul_lo_u32 v7, v4, s82                                   // 000000009420: D2850007 0000A504
	v_add_u32_e32 v44, v6, v7                                  // 000000009428: 68580F06
	v_readlane_b32 s82, v3, 6                                  // 00000000942C: D2890052 00010D03
	s_lshr_b32 s61, s82, 24                                    // 000000009434: 8F3D9852
	s_and_b32 s82, s82, 0xffffff                               // 000000009438: 8652FF52 00FFFFFF
	s_mul_i32 s82, s82, s71                                    // 000000009440: 92524752
	s_mul_i32 s61, s60, s61                                    // 000000009444: 923D3D3C
	s_add_u32 s82, s82, s61                                    // 000000009448: 80523D52
	v_mul_lo_u32 v6, v5, s82                                   // 00000000944C: D2850006 0000A505
	v_readlane_b32 s82, v3, 7                                  // 000000009454: D2890052 00010F03
	s_lshr_b32 s61, s82, 24                                    // 00000000945C: 8F3D9852
	s_and_b32 s82, s82, 0xffffff                               // 000000009460: 8652FF52 00FFFFFF
	s_mul_i32 s82, s82, s71                                    // 000000009468: 92524752
	s_mul_i32 s61, s60, s61                                    // 00000000946C: 923D3D3C
	s_add_u32 s82, s82, s61                                    // 000000009470: 80523D52
	v_mul_lo_u32 v7, v4, s82                                   // 000000009474: D2850007 0000A504
	v_add_u32_e32 v45, v6, v7                                  // 00000000947C: 685A0F06
	v_readlane_b32 s82, v3, 8                                  // 000000009480: D2890052 00011103
	s_lshr_b32 s61, s82, 24                                    // 000000009488: 8F3D9852
	s_and_b32 s82, s82, 0xffffff                               // 00000000948C: 8652FF52 00FFFFFF
	s_mul_i32 s82, s82, s71                                    // 000000009494: 92524752
	s_mul_i32 s61, s60, s61                                    // 000000009498: 923D3D3C
	s_add_u32 s82, s82, s61                                    // 00000000949C: 80523D52
	v_mul_lo_u32 v6, v5, s82                                   // 0000000094A0: D2850006 0000A505
	v_readlane_b32 s82, v3, 9                                  // 0000000094A8: D2890052 00011303
	s_lshr_b32 s61, s82, 24                                    // 0000000094B0: 8F3D9852
	s_and_b32 s82, s82, 0xffffff                               // 0000000094B4: 8652FF52 00FFFFFF
	s_mul_i32 s82, s82, s71                                    // 0000000094BC: 92524752
	s_mul_i32 s61, s60, s61                                    // 0000000094C0: 923D3D3C
	s_add_u32 s82, s82, s61                                    // 0000000094C4: 80523D52
	v_mul_lo_u32 v7, v4, s82                                   // 0000000094C8: D2850007 0000A504
	v_add_u32_e32 v46, v6, v7                                  // 0000000094D0: 685C0F06
	v_readlane_b32 s82, v3, 10                                 // 0000000094D4: D2890052 00011503
	s_lshr_b32 s61, s82, 24                                    // 0000000094DC: 8F3D9852
	s_and_b32 s82, s82, 0xffffff                               // 0000000094E0: 8652FF52 00FFFFFF
	s_mul_i32 s82, s82, s71                                    // 0000000094E8: 92524752
	s_mul_i32 s61, s60, s61                                    // 0000000094EC: 923D3D3C
	s_add_u32 s82, s82, s61                                    // 0000000094F0: 80523D52
	v_mul_lo_u32 v6, v5, s82                                   // 0000000094F4: D2850006 0000A505
	v_readlane_b32 s82, v3, 11                                 // 0000000094FC: D2890052 00011703
	s_lshr_b32 s61, s82, 24                                    // 000000009504: 8F3D9852
	s_and_b32 s82, s82, 0xffffff                               // 000000009508: 8652FF52 00FFFFFF
	s_mul_i32 s82, s82, s71                                    // 000000009510: 92524752
	s_mul_i32 s61, s60, s61                                    // 000000009514: 923D3D3C
	s_add_u32 s82, s82, s61                                    // 000000009518: 80523D52
	v_mul_lo_u32 v7, v4, s82                                   // 00000000951C: D2850007 0000A504
	v_add_u32_e32 v47, v6, v7                                  // 000000009524: 685E0F06
	v_and_b32_e32 v4, 31, v0                                   // 000000009528: 2608009F
	v_lshrrev_b32_e32 v4, 1, v4                                // 00000000952C: 20080881
	s_cmp_eq_u32 s88, 0                                        // 000000009530: BF068058
	s_cselect_b32 s61, 2, 4                                    // 000000009534: 853D8482
	v_mul_lo_u32 v4, v4, s61                                   // 000000009538: D2850004 00007B04
	v_and_b32_e64 v5, v0, 1                                    // 000000009540: D1130005 00010300
	v_add_u32_e32 v4, v4, v5                                   // 000000009548: 68080B04
	v_lshlrev_b32_e32 v4, 2, v4                                // 00000000954C: 24080882
	v_add_u32_e32 v42, v42, v4                                 // 000000009550: 6854092A
	v_add_u32_e32 v43, v43, v4                                 // 000000009554: 6856092B
	v_add_u32_e32 v44, v44, v4                                 // 000000009558: 6858092C
	v_add_u32_e32 v45, v45, v4                                 // 00000000955C: 685A092D
	v_add_u32_e32 v46, v46, v4                                 // 000000009560: 685C092E
	v_add_u32_e32 v47, v47, v4                                 // 000000009564: 685E092F
	s_waitcnt lgkmcnt(0)                                       // 000000009568: BF8CC07F
	s_barrier                                                  // 00000000956C: BF8A0000
	ds_read_b32 v52, v21                                       // 000000009570: D86C0000 34000015
	ds_read_b32 v53, v21 offset:64                             // 000000009578: D86C0040 35000015
	ds_read_b32 v54, v21 offset:2176                           // 000000009580: D86C0880 36000015
	ds_read_b32 v55, v21 offset:2240                           // 000000009588: D86C08C0 37000015
	ds_read_b32 v56, v21 offset:4352                           // 000000009590: D86C1100 38000015
	ds_read_b32 v57, v21 offset:4416                           // 000000009598: D86C1140 39000015
	s_waitcnt lgkmcnt(0)                                       // 0000000095A0: BF8CC07F
	s_mov_b32 s36, -1                                          // 0000000095A4: BEA400C1
	s_mov_b32 s37, -1                                          // 0000000095A8: BEA500C1
	v_mov_b32_e32 v7, 0                                        // 0000000095AC: 7E0E0280
	s_or_b32 s9, s9, 0x40000                                   // 0000000095B0: 8709FF09 00040000
	s_mov_b64 exec, s[36:37]                                   // 0000000095B8: BEFE0124
	v_mov_b32_e32 v6, v42                                      // 0000000095BC: 7E0C032A
	s_mov_b64 s[60:61], 0                                      // 0000000095C0: BEBC0180
	v_readlane_b32 s82, v3, 0                                  // 0000000095C4: D2890052 00010103
	s_and_b32 s82, s82, 0xffffff                               // 0000000095CC: 8652FF52 00FFFFFF
	s_cmp_lt_u32 s82, s66                                      // 0000000095D4: BF0A4252
	s_cselect_b32 s20, s36, s60                                // 0000000095D8: 85143C24
	v_readlane_b32 s82, v3, 1                                  // 0000000095DC: D2890052 00010303
	s_and_b32 s82, s82, 0xffffff                               // 0000000095E4: 8652FF52 00FFFFFF
	s_cmp_lt_u32 s82, s66                                      // 0000000095EC: BF0A4252
	s_cselect_b32 s21, s36, s60                                // 0000000095F0: 85153C24
	s_mov_b64 exec, s[20:21]                                   // 0000000095F4: BEFE0114
	buffer_store_dword v52, v6, s[8:11], 0 offen               // 0000000095F8: E0701000 80023406
	s_mov_b64 exec, s[36:37]                                   // 000000009600: BEFE0124
	v_mov_b32_e32 v6, v43                                      // 000000009604: 7E0C032B
	s_mov_b64 s[60:61], 0                                      // 000000009608: BEBC0180
	v_readlane_b32 s82, v3, 2                                  // 00000000960C: D2890052 00010503
	s_and_b32 s82, s82, 0xffffff                               // 000000009614: 8652FF52 00FFFFFF
	s_cmp_lt_u32 s82, s66                                      // 00000000961C: BF0A4252
	s_cselect_b32 s20, s36, s60                                // 000000009620: 85143C24
	v_readlane_b32 s82, v3, 3                                  // 000000009624: D2890052 00010703
	s_and_b32 s82, s82, 0xffffff                               // 00000000962C: 8652FF52 00FFFFFF
	s_cmp_lt_u32 s82, s66                                      // 000000009634: BF0A4252
	s_cselect_b32 s21, s36, s60                                // 000000009638: 85153C24
	s_mov_b64 exec, s[20:21]                                   // 00000000963C: BEFE0114
	buffer_store_dword v53, v6, s[8:11], 0 offen               // 000000009640: E0701000 80023506
	s_mov_b64 exec, s[36:37]                                   // 000000009648: BEFE0124
	v_mov_b32_e32 v6, v44                                      // 00000000964C: 7E0C032C
	s_mov_b64 s[60:61], 0                                      // 000000009650: BEBC0180
	v_readlane_b32 s82, v3, 4                                  // 000000009654: D2890052 00010903
	s_and_b32 s82, s82, 0xffffff                               // 00000000965C: 8652FF52 00FFFFFF
	s_cmp_lt_u32 s82, s66                                      // 000000009664: BF0A4252
	s_cselect_b32 s20, s36, s60                                // 000000009668: 85143C24
	v_readlane_b32 s82, v3, 5                                  // 00000000966C: D2890052 00010B03
	s_and_b32 s82, s82, 0xffffff                               // 000000009674: 8652FF52 00FFFFFF
	s_cmp_lt_u32 s82, s66                                      // 00000000967C: BF0A4252
	s_cselect_b32 s21, s36, s60                                // 000000009680: 85153C24
	s_mov_b64 exec, s[20:21]                                   // 000000009684: BEFE0114
	buffer_store_dword v54, v6, s[8:11], 0 offen               // 000000009688: E0701000 80023606
	s_mov_b64 exec, s[36:37]                                   // 000000009690: BEFE0124
	v_mov_b32_e32 v6, v45                                      // 000000009694: 7E0C032D
	s_mov_b64 s[60:61], 0                                      // 000000009698: BEBC0180
	v_readlane_b32 s82, v3, 6                                  // 00000000969C: D2890052 00010D03
	s_and_b32 s82, s82, 0xffffff                               // 0000000096A4: 8652FF52 00FFFFFF
	s_cmp_lt_u32 s82, s66                                      // 0000000096AC: BF0A4252
	s_cselect_b32 s20, s36, s60                                // 0000000096B0: 85143C24
	v_readlane_b32 s82, v3, 7                                  // 0000000096B4: D2890052 00010F03
	s_and_b32 s82, s82, 0xffffff                               // 0000000096BC: 8652FF52 00FFFFFF
	s_cmp_lt_u32 s82, s66                                      // 0000000096C4: BF0A4252
	s_cselect_b32 s21, s36, s60                                // 0000000096C8: 85153C24
	s_mov_b64 exec, s[20:21]                                   // 0000000096CC: BEFE0114
	buffer_store_dword v55, v6, s[8:11], 0 offen               // 0000000096D0: E0701000 80023706
	s_mov_b64 exec, s[36:37]                                   // 0000000096D8: BEFE0124
	v_mov_b32_e32 v6, v46                                      // 0000000096DC: 7E0C032E
	s_mov_b64 s[60:61], 0                                      // 0000000096E0: BEBC0180
	v_readlane_b32 s82, v3, 8                                  // 0000000096E4: D2890052 00011103
	s_and_b32 s82, s82, 0xffffff                               // 0000000096EC: 8652FF52 00FFFFFF
	s_cmp_lt_u32 s82, s66                                      // 0000000096F4: BF0A4252
	s_cselect_b32 s20, s36, s60                                // 0000000096F8: 85143C24
	v_readlane_b32 s82, v3, 9                                  // 0000000096FC: D2890052 00011303
	s_and_b32 s82, s82, 0xffffff                               // 000000009704: 8652FF52 00FFFFFF
	s_cmp_lt_u32 s82, s66                                      // 00000000970C: BF0A4252
	s_cselect_b32 s21, s36, s60                                // 000000009710: 85153C24
	s_mov_b64 exec, s[20:21]                                   // 000000009714: BEFE0114
	buffer_store_dword v56, v6, s[8:11], 0 offen               // 000000009718: E0701000 80023806
	s_mov_b64 exec, s[36:37]                                   // 000000009720: BEFE0124
	v_mov_b32_e32 v6, v47                                      // 000000009724: 7E0C032F
	s_mov_b64 s[60:61], 0                                      // 000000009728: BEBC0180
	v_readlane_b32 s82, v3, 10                                 // 00000000972C: D2890052 00011503
	s_and_b32 s82, s82, 0xffffff                               // 000000009734: 8652FF52 00FFFFFF
	s_cmp_lt_u32 s82, s66                                      // 00000000973C: BF0A4252
	s_cselect_b32 s20, s36, s60                                // 000000009740: 85143C24
	v_readlane_b32 s82, v3, 11                                 // 000000009744: D2890052 00011703
	s_and_b32 s82, s82, 0xffffff                               // 00000000974C: 8652FF52 00FFFFFF
	s_cmp_lt_u32 s82, s66                                      // 000000009754: BF0A4252
	s_cselect_b32 s21, s36, s60                                // 000000009758: 85153C24
	s_mov_b64 exec, s[20:21]                                   // 00000000975C: BEFE0114
	buffer_store_dword v57, v6, s[8:11], 0 offen               // 000000009760: E0701000 80023906
	s_mov_b64 exec, s[36:37]                                   // 000000009768: BEFE0124
	s_cmp_eq_u32 s7, 0                                         // 00000000976C: BF068007
	s_cbranch_scc0 label_1EAE                                  // 000000009770: BF84034E
	s_waitcnt vmcnt(6)                                         // 000000009774: BF8C0F76
	s_mov_b32 s8, s90                                          // 000000009778: BE88005A
	s_mov_b32 s9, s91                                          // 00000000977C: BE89005B
	s_mul_i32 s60, s66, s71                                    // 000000009780: 923C4742
	s_add_u32 s8, s60, s8                                      // 000000009784: 8008083C
	s_addc_u32 s9, 0, s9                                       // 000000009788: 82090980
	s_lshr_b32 s71, s71, 5                                     // 00000000978C: 8F478547
	s_mul_i32 s60, s66, s71                                    // 000000009790: 923C4742
	s_mov_b32 s10, s60                                         // 000000009794: BE8A003C
	s_lshr_b32 s61, s65, 5                                     // 000000009798: 8F3D8541
	s_mul_i32 s60, s2, 4                                       // 00000000979C: 923C8402
	v_lshrrev_b32_e32 v4, 24, v30                              // 0000000097A0: 20083C98
	v_mul_lo_u32 v4, s61, v4                                   // 0000000097A4: D2850004 0002083D
	v_and_b32_e32 v30, 0xffffff, v30                           // 0000000097AC: 263C3CFF 00FFFFFF
	v_mul_lo_u32 v30, s71, v30                                 // 0000000097B4: D285001E 00023C47
	v_add_u32_e32 v30, v4, v30                                 // 0000000097BC: 683C3D04
	v_add_u32_e32 v30, s60, v30                                // 0000000097C0: 683C3C3C
	v_lshrrev_b32_e32 v4, 24, v31                              // 0000000097C4: 20083E98
	v_mul_lo_u32 v4, s61, v4                                   // 0000000097C8: D2850004 0002083D
	v_and_b32_e32 v31, 0xffffff, v31                           // 0000000097D0: 263E3EFF 00FFFFFF
	v_mul_lo_u32 v31, s71, v31                                 // 0000000097D8: D285001F 00023E47
	v_add_u32_e32 v31, v4, v31                                 // 0000000097E0: 683E3F04
	v_add_u32_e32 v31, s60, v31                                // 0000000097E4: 683E3E3C
	v_lshrrev_b32_e32 v4, 24, v32                              // 0000000097E8: 20084098
	v_mul_lo_u32 v4, s61, v4                                   // 0000000097EC: D2850004 0002083D
	v_and_b32_e32 v32, 0xffffff, v32                           // 0000000097F4: 264040FF 00FFFFFF
	v_mul_lo_u32 v32, s71, v32                                 // 0000000097FC: D2850020 00024047
	v_add_u32_e32 v32, v4, v32                                 // 000000009804: 68404104
	v_add_u32_e32 v32, s60, v32                                // 000000009808: 6840403C
	s_mov_b64 exec, 0xffff                                     // 00000000980C: BEFE01FF 0000FFFF
	buffer_store_dword v76, v30, s[8:11], 0 offen              // 000000009814: E0701000 80024C1E
	buffer_store_dword v77, v31, s[8:11], 0 offen              // 00000000981C: E0701000 80024D1F
	buffer_store_dword v78, v32, s[8:11], 0 offen              // 000000009824: E0701000 80024E20
	s_mov_b64 exec, s[36:37]                                   // 00000000982C: BEFE0124
	s_branch label_1EAE                                        // 000000009830: BF82031E

0000000000009834 <label_1B90>:
	ds_write_b64 v20, v[52:53]                                 // 000000009834: D89A0000 00003414
	ds_write_b64 v20, v[56:57] offset:4352                     // 00000000983C: D89A1100 00003814
	ds_write_b64 v20, v[60:61] offset:8704                     // 000000009844: D89A2200 00003C14
	ds_write_b64 v20, v[64:65] offset:2176                     // 00000000984C: D89A0880 00004014
	ds_write_b64 v20, v[68:69] offset:6528                     // 000000009854: D89A1980 00004414
	ds_write_b64 v20, v[72:73] offset:10880                    // 00000000985C: D89A2A80 00004814
	v_lshrrev_b32_e32 v4, 5, v0                                // 000000009864: 20080085
	v_xor_b32_e32 v5, 1, v4                                    // 000000009868: 2A0A0881
	s_mul_i32 s60, s65, 1                                      // 00000000986C: 923C8141
	s_cmp_eq_u32 s88, 0                                        // 000000009870: BF068058
	s_cselect_b32 s61, 1, 8                                    // 000000009874: 853D8881
	s_mul_i32 s60, s61, s60                                    // 000000009878: 923C3C3D
	v_readlane_b32 s82, v3, 0                                  // 00000000987C: D2890052 00010103
	s_lshr_b32 s61, s82, 24                                    // 000000009884: 8F3D9852
	s_and_b32 s82, s82, 0xffffff                               // 000000009888: 8652FF52 00FFFFFF
	s_mul_i32 s82, s82, s71                                    // 000000009890: 92524752
	s_mul_i32 s61, s60, s61                                    // 000000009894: 923D3D3C
	s_add_u32 s82, s82, s61                                    // 000000009898: 80523D52
	v_mul_lo_u32 v6, v5, s82                                   // 00000000989C: D2850006 0000A505
	v_readlane_b32 s82, v3, 1                                  // 0000000098A4: D2890052 00010303
	s_lshr_b32 s61, s82, 24                                    // 0000000098AC: 8F3D9852
	s_and_b32 s82, s82, 0xffffff                               // 0000000098B0: 8652FF52 00FFFFFF
	s_mul_i32 s82, s82, s71                                    // 0000000098B8: 92524752
	s_mul_i32 s61, s60, s61                                    // 0000000098BC: 923D3D3C
	s_add_u32 s82, s82, s61                                    // 0000000098C0: 80523D52
	v_mul_lo_u32 v7, v4, s82                                   // 0000000098C4: D2850007 0000A504
	v_add_u32_e32 v42, v6, v7                                  // 0000000098CC: 68540F06
	v_readlane_b32 s82, v3, 2                                  // 0000000098D0: D2890052 00010503
	s_lshr_b32 s61, s82, 24                                    // 0000000098D8: 8F3D9852
	s_and_b32 s82, s82, 0xffffff                               // 0000000098DC: 8652FF52 00FFFFFF
	s_mul_i32 s82, s82, s71                                    // 0000000098E4: 92524752
	s_mul_i32 s61, s60, s61                                    // 0000000098E8: 923D3D3C
	s_add_u32 s82, s82, s61                                    // 0000000098EC: 80523D52
	v_mul_lo_u32 v6, v5, s82                                   // 0000000098F0: D2850006 0000A505
	v_readlane_b32 s82, v3, 3                                  // 0000000098F8: D2890052 00010703
	s_lshr_b32 s61, s82, 24                                    // 000000009900: 8F3D9852
	s_and_b32 s82, s82, 0xffffff                               // 000000009904: 8652FF52 00FFFFFF
	s_mul_i32 s82, s82, s71                                    // 00000000990C: 92524752
	s_mul_i32 s61, s60, s61                                    // 000000009910: 923D3D3C
	s_add_u32 s82, s82, s61                                    // 000000009914: 80523D52
	v_mul_lo_u32 v7, v4, s82                                   // 000000009918: D2850007 0000A504
	v_add_u32_e32 v43, v6, v7                                  // 000000009920: 68560F06
	v_readlane_b32 s82, v3, 4                                  // 000000009924: D2890052 00010903
	s_lshr_b32 s61, s82, 24                                    // 00000000992C: 8F3D9852
	s_and_b32 s82, s82, 0xffffff                               // 000000009930: 8652FF52 00FFFFFF
	s_mul_i32 s82, s82, s71                                    // 000000009938: 92524752
	s_mul_i32 s61, s60, s61                                    // 00000000993C: 923D3D3C
	s_add_u32 s82, s82, s61                                    // 000000009940: 80523D52
	v_mul_lo_u32 v6, v5, s82                                   // 000000009944: D2850006 0000A505
	v_readlane_b32 s82, v3, 5                                  // 00000000994C: D2890052 00010B03
	s_lshr_b32 s61, s82, 24                                    // 000000009954: 8F3D9852
	s_and_b32 s82, s82, 0xffffff                               // 000000009958: 8652FF52 00FFFFFF
	s_mul_i32 s82, s82, s71                                    // 000000009960: 92524752
	s_mul_i32 s61, s60, s61                                    // 000000009964: 923D3D3C
	s_add_u32 s82, s82, s61                                    // 000000009968: 80523D52
	v_mul_lo_u32 v7, v4, s82                                   // 00000000996C: D2850007 0000A504
	v_add_u32_e32 v44, v6, v7                                  // 000000009974: 68580F06
	v_readlane_b32 s82, v3, 6                                  // 000000009978: D2890052 00010D03
	s_lshr_b32 s61, s82, 24                                    // 000000009980: 8F3D9852
	s_and_b32 s82, s82, 0xffffff                               // 000000009984: 8652FF52 00FFFFFF
	s_mul_i32 s82, s82, s71                                    // 00000000998C: 92524752
	s_mul_i32 s61, s60, s61                                    // 000000009990: 923D3D3C
	s_add_u32 s82, s82, s61                                    // 000000009994: 80523D52
	v_mul_lo_u32 v6, v5, s82                                   // 000000009998: D2850006 0000A505
	v_readlane_b32 s82, v3, 7                                  // 0000000099A0: D2890052 00010F03
	s_lshr_b32 s61, s82, 24                                    // 0000000099A8: 8F3D9852
	s_and_b32 s82, s82, 0xffffff                               // 0000000099AC: 8652FF52 00FFFFFF
	s_mul_i32 s82, s82, s71                                    // 0000000099B4: 92524752
	s_mul_i32 s61, s60, s61                                    // 0000000099B8: 923D3D3C
	s_add_u32 s82, s82, s61                                    // 0000000099BC: 80523D52
	v_mul_lo_u32 v7, v4, s82                                   // 0000000099C0: D2850007 0000A504
	v_add_u32_e32 v45, v6, v7                                  // 0000000099C8: 685A0F06
	v_readlane_b32 s82, v3, 8                                  // 0000000099CC: D2890052 00011103
	s_lshr_b32 s61, s82, 24                                    // 0000000099D4: 8F3D9852
	s_and_b32 s82, s82, 0xffffff                               // 0000000099D8: 8652FF52 00FFFFFF
	s_mul_i32 s82, s82, s71                                    // 0000000099E0: 92524752
	s_mul_i32 s61, s60, s61                                    // 0000000099E4: 923D3D3C
	s_add_u32 s82, s82, s61                                    // 0000000099E8: 80523D52
	v_mul_lo_u32 v6, v5, s82                                   // 0000000099EC: D2850006 0000A505
	v_readlane_b32 s82, v3, 9                                  // 0000000099F4: D2890052 00011303
	s_lshr_b32 s61, s82, 24                                    // 0000000099FC: 8F3D9852
	s_and_b32 s82, s82, 0xffffff                               // 000000009A00: 8652FF52 00FFFFFF
	s_mul_i32 s82, s82, s71                                    // 000000009A08: 92524752
	s_mul_i32 s61, s60, s61                                    // 000000009A0C: 923D3D3C
	s_add_u32 s82, s82, s61                                    // 000000009A10: 80523D52
	v_mul_lo_u32 v7, v4, s82                                   // 000000009A14: D2850007 0000A504
	v_add_u32_e32 v46, v6, v7                                  // 000000009A1C: 685C0F06
	v_readlane_b32 s82, v3, 10                                 // 000000009A20: D2890052 00011503
	s_lshr_b32 s61, s82, 24                                    // 000000009A28: 8F3D9852
	s_and_b32 s82, s82, 0xffffff                               // 000000009A2C: 8652FF52 00FFFFFF
	s_mul_i32 s82, s82, s71                                    // 000000009A34: 92524752
	s_mul_i32 s61, s60, s61                                    // 000000009A38: 923D3D3C
	s_add_u32 s82, s82, s61                                    // 000000009A3C: 80523D52
	v_mul_lo_u32 v6, v5, s82                                   // 000000009A40: D2850006 0000A505
	v_readlane_b32 s82, v3, 11                                 // 000000009A48: D2890052 00011703
	s_lshr_b32 s61, s82, 24                                    // 000000009A50: 8F3D9852
	s_and_b32 s82, s82, 0xffffff                               // 000000009A54: 8652FF52 00FFFFFF
	s_mul_i32 s82, s82, s71                                    // 000000009A5C: 92524752
	s_mul_i32 s61, s60, s61                                    // 000000009A60: 923D3D3C
	s_add_u32 s82, s82, s61                                    // 000000009A64: 80523D52
	v_mul_lo_u32 v7, v4, s82                                   // 000000009A68: D2850007 0000A504
	v_add_u32_e32 v47, v6, v7                                  // 000000009A70: 685E0F06
	v_and_b32_e32 v4, 31, v0                                   // 000000009A74: 2608009F
	v_lshrrev_b32_e32 v4, 1, v4                                // 000000009A78: 20080881
	s_cmp_eq_u32 s88, 0                                        // 000000009A7C: BF068058
	s_cselect_b32 s61, 2, 4                                    // 000000009A80: 853D8482
	v_mul_lo_u32 v4, v4, s61                                   // 000000009A84: D2850004 00007B04
	v_and_b32_e64 v5, v0, 1                                    // 000000009A8C: D1130005 00010300
	v_add_u32_e32 v4, v4, v5                                   // 000000009A94: 68080B04
	v_lshlrev_b32_e32 v4, 2, v4                                // 000000009A98: 24080882
	v_add_u32_e32 v42, v42, v4                                 // 000000009A9C: 6854092A
	v_add_u32_e32 v43, v43, v4                                 // 000000009AA0: 6856092B
	v_add_u32_e32 v44, v44, v4                                 // 000000009AA4: 6858092C
	v_add_u32_e32 v45, v45, v4                                 // 000000009AA8: 685A092D
	v_add_u32_e32 v46, v46, v4                                 // 000000009AAC: 685C092E
	v_add_u32_e32 v47, v47, v4                                 // 000000009AB0: 685E092F
	s_waitcnt lgkmcnt(0)                                       // 000000009AB4: BF8CC07F
	s_barrier                                                  // 000000009AB8: BF8A0000
	ds_read_b32 v52, v21                                       // 000000009ABC: D86C0000 34000015
	ds_read_b32 v53, v21 offset:64                             // 000000009AC4: D86C0040 35000015
	ds_read_b32 v56, v21 offset:2176                           // 000000009ACC: D86C0880 38000015
	ds_read_b32 v57, v21 offset:2240                           // 000000009AD4: D86C08C0 39000015
	ds_read_b32 v60, v21 offset:4352                           // 000000009ADC: D86C1100 3C000015
	ds_read_b32 v61, v21 offset:4416                           // 000000009AE4: D86C1140 3D000015
	ds_read_b32 v64, v21 offset:6528                           // 000000009AEC: D86C1980 40000015
	ds_read_b32 v65, v21 offset:6592                           // 000000009AF4: D86C19C0 41000015
	ds_read_b32 v68, v21 offset:8704                           // 000000009AFC: D86C2200 44000015
	ds_read_b32 v69, v21 offset:8768                           // 000000009B04: D86C2240 45000015
	ds_read_b32 v72, v21 offset:10880                          // 000000009B0C: D86C2A80 48000015
	ds_read_b32 v73, v21 offset:10944                          // 000000009B14: D86C2AC0 49000015
	s_waitcnt lgkmcnt(0)                                       // 000000009B1C: BF8CC07F
	s_mov_b32 s36, -1                                          // 000000009B20: BEA400C1
	s_mov_b32 s37, -1                                          // 000000009B24: BEA500C1
	v_mov_b32_e32 v7, 0                                        // 000000009B28: 7E0E0280
	s_mov_b64 exec, s[36:37]                                   // 000000009B2C: BEFE0124
	v_mov_b32_e32 v6, v42                                      // 000000009B30: 7E0C032A
	s_mov_b64 s[60:61], 0                                      // 000000009B34: BEBC0180
	v_readlane_b32 s82, v3, 0                                  // 000000009B38: D2890052 00010103
	s_and_b32 s82, s82, 0xffffff                               // 000000009B40: 8652FF52 00FFFFFF
	s_cmp_lt_u32 s82, s66                                      // 000000009B48: BF0A4252
	s_cselect_b32 s20, s36, s60                                // 000000009B4C: 85143C24
	v_readlane_b32 s82, v3, 1                                  // 000000009B50: D2890052 00010303
	s_and_b32 s82, s82, 0xffffff                               // 000000009B58: 8652FF52 00FFFFFF
	s_cmp_lt_u32 s82, s66                                      // 000000009B60: BF0A4252
	s_cselect_b32 s21, s36, s60                                // 000000009B64: 85153C24
	s_mov_b64 exec, s[20:21]                                   // 000000009B68: BEFE0114
	global_atomic_add_f32 v6, v52, s[8:9]                      // 000000009B6C: DD348000 00083406
	global_atomic_add_f32 v6, v56, s[8:9] offset:256           // 000000009B74: DD348100 00083806
	s_mov_b64 exec, s[36:37]                                   // 000000009B7C: BEFE0124
	v_mov_b32_e32 v6, v43                                      // 000000009B80: 7E0C032B
	s_mov_b64 s[60:61], 0                                      // 000000009B84: BEBC0180
	v_readlane_b32 s82, v3, 2                                  // 000000009B88: D2890052 00010503
	s_and_b32 s82, s82, 0xffffff                               // 000000009B90: 8652FF52 00FFFFFF
	s_cmp_lt_u32 s82, s66                                      // 000000009B98: BF0A4252
	s_cselect_b32 s20, s36, s60                                // 000000009B9C: 85143C24
	v_readlane_b32 s82, v3, 3                                  // 000000009BA0: D2890052 00010703
	s_and_b32 s82, s82, 0xffffff                               // 000000009BA8: 8652FF52 00FFFFFF
	s_cmp_lt_u32 s82, s66                                      // 000000009BB0: BF0A4252
	s_cselect_b32 s21, s36, s60                                // 000000009BB4: 85153C24
	s_mov_b64 exec, s[20:21]                                   // 000000009BB8: BEFE0114
	global_atomic_add_f32 v6, v53, s[8:9]                      // 000000009BBC: DD348000 00083506
	global_atomic_add_f32 v6, v57, s[8:9] offset:256           // 000000009BC4: DD348100 00083906
	s_mov_b64 exec, s[36:37]                                   // 000000009BCC: BEFE0124
	v_mov_b32_e32 v6, v44                                      // 000000009BD0: 7E0C032C
	s_mov_b64 s[60:61], 0                                      // 000000009BD4: BEBC0180
	v_readlane_b32 s82, v3, 4                                  // 000000009BD8: D2890052 00010903
	s_and_b32 s82, s82, 0xffffff                               // 000000009BE0: 8652FF52 00FFFFFF
	s_cmp_lt_u32 s82, s66                                      // 000000009BE8: BF0A4252
	s_cselect_b32 s20, s36, s60                                // 000000009BEC: 85143C24
	v_readlane_b32 s82, v3, 5                                  // 000000009BF0: D2890052 00010B03
	s_and_b32 s82, s82, 0xffffff                               // 000000009BF8: 8652FF52 00FFFFFF
	s_cmp_lt_u32 s82, s66                                      // 000000009C00: BF0A4252
	s_cselect_b32 s21, s36, s60                                // 000000009C04: 85153C24
	s_mov_b64 exec, s[20:21]                                   // 000000009C08: BEFE0114
	global_atomic_add_f32 v6, v60, s[8:9]                      // 000000009C0C: DD348000 00083C06
	global_atomic_add_f32 v6, v64, s[8:9] offset:256           // 000000009C14: DD348100 00084006
	s_mov_b64 exec, s[36:37]                                   // 000000009C1C: BEFE0124
	v_mov_b32_e32 v6, v45                                      // 000000009C20: 7E0C032D
	s_mov_b64 s[60:61], 0                                      // 000000009C24: BEBC0180
	v_readlane_b32 s82, v3, 6                                  // 000000009C28: D2890052 00010D03
	s_and_b32 s82, s82, 0xffffff                               // 000000009C30: 8652FF52 00FFFFFF
	s_cmp_lt_u32 s82, s66                                      // 000000009C38: BF0A4252
	s_cselect_b32 s20, s36, s60                                // 000000009C3C: 85143C24
	v_readlane_b32 s82, v3, 7                                  // 000000009C40: D2890052 00010F03
	s_and_b32 s82, s82, 0xffffff                               // 000000009C48: 8652FF52 00FFFFFF
	s_cmp_lt_u32 s82, s66                                      // 000000009C50: BF0A4252
	s_cselect_b32 s21, s36, s60                                // 000000009C54: 85153C24
	s_mov_b64 exec, s[20:21]                                   // 000000009C58: BEFE0114
	global_atomic_add_f32 v6, v61, s[8:9]                      // 000000009C5C: DD348000 00083D06
	global_atomic_add_f32 v6, v65, s[8:9] offset:256           // 000000009C64: DD348100 00084106
	s_mov_b64 exec, s[36:37]                                   // 000000009C6C: BEFE0124
	v_mov_b32_e32 v6, v46                                      // 000000009C70: 7E0C032E
	s_mov_b64 s[60:61], 0                                      // 000000009C74: BEBC0180
	v_readlane_b32 s82, v3, 8                                  // 000000009C78: D2890052 00011103
	s_and_b32 s82, s82, 0xffffff                               // 000000009C80: 8652FF52 00FFFFFF
	s_cmp_lt_u32 s82, s66                                      // 000000009C88: BF0A4252
	s_cselect_b32 s20, s36, s60                                // 000000009C8C: 85143C24
	v_readlane_b32 s82, v3, 9                                  // 000000009C90: D2890052 00011303
	s_and_b32 s82, s82, 0xffffff                               // 000000009C98: 8652FF52 00FFFFFF
	s_cmp_lt_u32 s82, s66                                      // 000000009CA0: BF0A4252
	s_cselect_b32 s21, s36, s60                                // 000000009CA4: 85153C24
	s_mov_b64 exec, s[20:21]                                   // 000000009CA8: BEFE0114
	global_atomic_add_f32 v6, v68, s[8:9]                      // 000000009CAC: DD348000 00084406
	global_atomic_add_f32 v6, v72, s[8:9] offset:256           // 000000009CB4: DD348100 00084806
	s_mov_b64 exec, s[36:37]                                   // 000000009CBC: BEFE0124
	v_mov_b32_e32 v6, v47                                      // 000000009CC0: 7E0C032F
	s_mov_b64 s[60:61], 0                                      // 000000009CC4: BEBC0180
	v_readlane_b32 s82, v3, 10                                 // 000000009CC8: D2890052 00011503
	s_and_b32 s82, s82, 0xffffff                               // 000000009CD0: 8652FF52 00FFFFFF
	s_cmp_lt_u32 s82, s66                                      // 000000009CD8: BF0A4252
	s_cselect_b32 s20, s36, s60                                // 000000009CDC: 85143C24
	v_readlane_b32 s82, v3, 11                                 // 000000009CE0: D2890052 00011703
	s_and_b32 s82, s82, 0xffffff                               // 000000009CE8: 8652FF52 00FFFFFF
	s_cmp_lt_u32 s82, s66                                      // 000000009CF0: BF0A4252
	s_cselect_b32 s21, s36, s60                                // 000000009CF4: 85153C24
	s_mov_b64 exec, s[20:21]                                   // 000000009CF8: BEFE0114
	global_atomic_add_f32 v6, v69, s[8:9]                      // 000000009CFC: DD348000 00084506
	global_atomic_add_f32 v6, v73, s[8:9] offset:256           // 000000009D04: DD348100 00084906
	s_mov_b64 exec, s[36:37]                                   // 000000009D0C: BEFE0124
	ds_write_b64 v20, v[54:55]                                 // 000000009D10: D89A0000 00003614
	ds_write_b64 v20, v[58:59] offset:4352                     // 000000009D18: D89A1100 00003A14
	ds_write_b64 v20, v[62:63] offset:8704                     // 000000009D20: D89A2200 00003E14
	ds_write_b64 v20, v[66:67] offset:2176                     // 000000009D28: D89A0880 00004214
	ds_write_b64 v20, v[70:71] offset:6528                     // 000000009D30: D89A1980 00004614
	ds_write_b64 v20, v[74:75] offset:10880                    // 000000009D38: D89A2A80 00004A14
	s_waitcnt lgkmcnt(0)                                       // 000000009D40: BF8CC07F
	s_barrier                                                  // 000000009D44: BF8A0000
	ds_read_b32 v54, v21                                       // 000000009D48: D86C0000 36000015
	ds_read_b32 v55, v21 offset:64                             // 000000009D50: D86C0040 37000015
	ds_read_b32 v58, v21 offset:2176                           // 000000009D58: D86C0880 3A000015
	ds_read_b32 v59, v21 offset:2240                           // 000000009D60: D86C08C0 3B000015
	ds_read_b32 v62, v21 offset:4352                           // 000000009D68: D86C1100 3E000015
	ds_read_b32 v63, v21 offset:4416                           // 000000009D70: D86C1140 3F000015
	ds_read_b32 v66, v21 offset:6528                           // 000000009D78: D86C1980 42000015
	ds_read_b32 v67, v21 offset:6592                           // 000000009D80: D86C19C0 43000015
	ds_read_b32 v70, v21 offset:8704                           // 000000009D88: D86C2200 46000015
	ds_read_b32 v71, v21 offset:8768                           // 000000009D90: D86C2240 47000015
	ds_read_b32 v74, v21 offset:10880                          // 000000009D98: D86C2A80 4A000015
	ds_read_b32 v75, v21 offset:10944                          // 000000009DA0: D86C2AC0 4B000015
	s_waitcnt lgkmcnt(0)                                       // 000000009DA8: BF8CC07F
	v_mov_b32_e32 v7, 0                                        // 000000009DAC: 7E0E0280
	s_mov_b64 exec, s[36:37]                                   // 000000009DB0: BEFE0124
	v_mov_b32_e32 v6, v42                                      // 000000009DB4: 7E0C032A
	s_mov_b64 s[60:61], 0                                      // 000000009DB8: BEBC0180
	v_readlane_b32 s82, v3, 0                                  // 000000009DBC: D2890052 00010103
	s_and_b32 s82, s82, 0xffffff                               // 000000009DC4: 8652FF52 00FFFFFF
	s_cmp_lt_u32 s82, s66                                      // 000000009DCC: BF0A4252
	s_cselect_b32 s20, s36, s60                                // 000000009DD0: 85143C24
	v_readlane_b32 s82, v3, 1                                  // 000000009DD4: D2890052 00010303
	s_and_b32 s82, s82, 0xffffff                               // 000000009DDC: 8652FF52 00FFFFFF
	s_cmp_lt_u32 s82, s66                                      // 000000009DE4: BF0A4252
	s_cselect_b32 s21, s36, s60                                // 000000009DE8: 85153C24
	s_mov_b64 exec, s[20:21]                                   // 000000009DEC: BEFE0114
	global_atomic_add_f32 v6, v54, s[8:9] offset:8             // 000000009DF0: DD348008 00083606
	global_atomic_add_f32 v6, v58, s[8:9] offset:264           // 000000009DF8: DD348108 00083A06
	s_mov_b64 exec, s[36:37]                                   // 000000009E00: BEFE0124
	v_mov_b32_e32 v6, v43                                      // 000000009E04: 7E0C032B
	s_mov_b64 s[60:61], 0                                      // 000000009E08: BEBC0180
	v_readlane_b32 s82, v3, 2                                  // 000000009E0C: D2890052 00010503
	s_and_b32 s82, s82, 0xffffff                               // 000000009E14: 8652FF52 00FFFFFF
	s_cmp_lt_u32 s82, s66                                      // 000000009E1C: BF0A4252
	s_cselect_b32 s20, s36, s60                                // 000000009E20: 85143C24
	v_readlane_b32 s82, v3, 3                                  // 000000009E24: D2890052 00010703
	s_and_b32 s82, s82, 0xffffff                               // 000000009E2C: 8652FF52 00FFFFFF
	s_cmp_lt_u32 s82, s66                                      // 000000009E34: BF0A4252
	s_cselect_b32 s21, s36, s60                                // 000000009E38: 85153C24
	s_mov_b64 exec, s[20:21]                                   // 000000009E3C: BEFE0114
	global_atomic_add_f32 v6, v55, s[8:9] offset:8             // 000000009E40: DD348008 00083706
	global_atomic_add_f32 v6, v59, s[8:9] offset:264           // 000000009E48: DD348108 00083B06
	s_mov_b64 exec, s[36:37]                                   // 000000009E50: BEFE0124
	v_mov_b32_e32 v6, v44                                      // 000000009E54: 7E0C032C
	s_mov_b64 s[60:61], 0                                      // 000000009E58: BEBC0180
	v_readlane_b32 s82, v3, 4                                  // 000000009E5C: D2890052 00010903
	s_and_b32 s82, s82, 0xffffff                               // 000000009E64: 8652FF52 00FFFFFF
	s_cmp_lt_u32 s82, s66                                      // 000000009E6C: BF0A4252
	s_cselect_b32 s20, s36, s60                                // 000000009E70: 85143C24
	v_readlane_b32 s82, v3, 5                                  // 000000009E74: D2890052 00010B03
	s_and_b32 s82, s82, 0xffffff                               // 000000009E7C: 8652FF52 00FFFFFF
	s_cmp_lt_u32 s82, s66                                      // 000000009E84: BF0A4252
	s_cselect_b32 s21, s36, s60                                // 000000009E88: 85153C24
	s_mov_b64 exec, s[20:21]                                   // 000000009E8C: BEFE0114
	global_atomic_add_f32 v6, v62, s[8:9] offset:8             // 000000009E90: DD348008 00083E06
	global_atomic_add_f32 v6, v66, s[8:9] offset:264           // 000000009E98: DD348108 00084206
	s_mov_b64 exec, s[36:37]                                   // 000000009EA0: BEFE0124
	v_mov_b32_e32 v6, v45                                      // 000000009EA4: 7E0C032D
	s_mov_b64 s[60:61], 0                                      // 000000009EA8: BEBC0180
	v_readlane_b32 s82, v3, 6                                  // 000000009EAC: D2890052 00010D03
	s_and_b32 s82, s82, 0xffffff                               // 000000009EB4: 8652FF52 00FFFFFF
	s_cmp_lt_u32 s82, s66                                      // 000000009EBC: BF0A4252
	s_cselect_b32 s20, s36, s60                                // 000000009EC0: 85143C24
	v_readlane_b32 s82, v3, 7                                  // 000000009EC4: D2890052 00010F03
	s_and_b32 s82, s82, 0xffffff                               // 000000009ECC: 8652FF52 00FFFFFF
	s_cmp_lt_u32 s82, s66                                      // 000000009ED4: BF0A4252
	s_cselect_b32 s21, s36, s60                                // 000000009ED8: 85153C24
	s_mov_b64 exec, s[20:21]                                   // 000000009EDC: BEFE0114
	global_atomic_add_f32 v6, v63, s[8:9] offset:8             // 000000009EE0: DD348008 00083F06
	global_atomic_add_f32 v6, v67, s[8:9] offset:264           // 000000009EE8: DD348108 00084306
	s_mov_b64 exec, s[36:37]                                   // 000000009EF0: BEFE0124
	v_mov_b32_e32 v6, v46                                      // 000000009EF4: 7E0C032E
	s_mov_b64 s[60:61], 0                                      // 000000009EF8: BEBC0180
	v_readlane_b32 s82, v3, 8                                  // 000000009EFC: D2890052 00011103
	s_and_b32 s82, s82, 0xffffff                               // 000000009F04: 8652FF52 00FFFFFF
	s_cmp_lt_u32 s82, s66                                      // 000000009F0C: BF0A4252
	s_cselect_b32 s20, s36, s60                                // 000000009F10: 85143C24
	v_readlane_b32 s82, v3, 9                                  // 000000009F14: D2890052 00011303
	s_and_b32 s82, s82, 0xffffff                               // 000000009F1C: 8652FF52 00FFFFFF
	s_cmp_lt_u32 s82, s66                                      // 000000009F24: BF0A4252
	s_cselect_b32 s21, s36, s60                                // 000000009F28: 85153C24
	s_mov_b64 exec, s[20:21]                                   // 000000009F2C: BEFE0114
	global_atomic_add_f32 v6, v70, s[8:9] offset:8             // 000000009F30: DD348008 00084606
	global_atomic_add_f32 v6, v74, s[8:9] offset:264           // 000000009F38: DD348108 00084A06
	s_mov_b64 exec, s[36:37]                                   // 000000009F40: BEFE0124
	v_mov_b32_e32 v6, v47                                      // 000000009F44: 7E0C032F
	s_mov_b64 s[60:61], 0                                      // 000000009F48: BEBC0180
	v_readlane_b32 s82, v3, 10                                 // 000000009F4C: D2890052 00011503
	s_and_b32 s82, s82, 0xffffff                               // 000000009F54: 8652FF52 00FFFFFF
	s_cmp_lt_u32 s82, s66                                      // 000000009F5C: BF0A4252
	s_cselect_b32 s20, s36, s60                                // 000000009F60: 85143C24
	v_readlane_b32 s82, v3, 11                                 // 000000009F64: D2890052 00011703
	s_and_b32 s82, s82, 0xffffff                               // 000000009F6C: 8652FF52 00FFFFFF
	s_cmp_lt_u32 s82, s66                                      // 000000009F74: BF0A4252
	s_cselect_b32 s21, s36, s60                                // 000000009F78: 85153C24
	s_mov_b64 exec, s[20:21]                                   // 000000009F7C: BEFE0114
	global_atomic_add_f32 v6, v71, s[8:9] offset:8             // 000000009F80: DD348008 00084706
	global_atomic_add_f32 v6, v75, s[8:9] offset:264           // 000000009F88: DD348108 00084B06
	s_mov_b64 exec, s[36:37]                                   // 000000009F90: BEFE0124
	ds_write_b64 v20, v[76:77]                                 // 000000009F94: D89A0000 00004C14
	ds_write_b64 v20, v[80:81] offset:4352                     // 000000009F9C: D89A1100 00005014
	ds_write_b64 v20, v[84:85] offset:8704                     // 000000009FA4: D89A2200 00005414
	ds_write_b64 v20, v[88:89] offset:2176                     // 000000009FAC: D89A0880 00005814
	ds_write_b64 v20, v[92:93] offset:6528                     // 000000009FB4: D89A1980 00005C14
	ds_write_b64 v20, v[96:97] offset:10880                    // 000000009FBC: D89A2A80 00006014
	s_waitcnt lgkmcnt(0)                                       // 000000009FC4: BF8CC07F
	s_barrier                                                  // 000000009FC8: BF8A0000
	ds_read_b32 v76, v21                                       // 000000009FCC: D86C0000 4C000015
	ds_read_b32 v77, v21 offset:64                             // 000000009FD4: D86C0040 4D000015
	ds_read_b32 v80, v21 offset:2176                           // 000000009FDC: D86C0880 50000015
	ds_read_b32 v81, v21 offset:2240                           // 000000009FE4: D86C08C0 51000015
	ds_read_b32 v84, v21 offset:4352                           // 000000009FEC: D86C1100 54000015
	ds_read_b32 v85, v21 offset:4416                           // 000000009FF4: D86C1140 55000015
	ds_read_b32 v88, v21 offset:6528                           // 000000009FFC: D86C1980 58000015
	ds_read_b32 v89, v21 offset:6592                           // 00000000A004: D86C19C0 59000015
	ds_read_b32 v92, v21 offset:8704                           // 00000000A00C: D86C2200 5C000015
	ds_read_b32 v93, v21 offset:8768                           // 00000000A014: D86C2240 5D000015
	ds_read_b32 v96, v21 offset:10880                          // 00000000A01C: D86C2A80 60000015
	ds_read_b32 v97, v21 offset:10944                          // 00000000A024: D86C2AC0 61000015
	s_mul_i32 s60, s65, 4                                      // 00000000A02C: 923C8441
	s_add_u32 s8, s60, s8                                      // 00000000A030: 8008083C
	s_addc_u32 s9, 0, s9                                       // 00000000A034: 82090980
	s_waitcnt lgkmcnt(0)                                       // 00000000A038: BF8CC07F
	v_mov_b32_e32 v7, 0                                        // 00000000A03C: 7E0E0280
	s_mov_b64 exec, s[36:37]                                   // 00000000A040: BEFE0124
	v_mov_b32_e32 v6, v42                                      // 00000000A044: 7E0C032A
	s_mov_b64 s[60:61], 0                                      // 00000000A048: BEBC0180
	v_readlane_b32 s82, v3, 0                                  // 00000000A04C: D2890052 00010103
	s_and_b32 s82, s82, 0xffffff                               // 00000000A054: 8652FF52 00FFFFFF
	s_cmp_lt_u32 s82, s66                                      // 00000000A05C: BF0A4252
	s_cselect_b32 s20, s36, s60                                // 00000000A060: 85143C24
	v_readlane_b32 s82, v3, 1                                  // 00000000A064: D2890052 00010303
	s_and_b32 s82, s82, 0xffffff                               // 00000000A06C: 8652FF52 00FFFFFF
	s_cmp_lt_u32 s82, s66                                      // 00000000A074: BF0A4252
	s_cselect_b32 s21, s36, s60                                // 00000000A078: 85153C24
	s_mov_b64 exec, s[20:21]                                   // 00000000A07C: BEFE0114
	global_atomic_add_f32 v6, v76, s[8:9]                      // 00000000A080: DD348000 00084C06
	global_atomic_add_f32 v6, v80, s[8:9] offset:256           // 00000000A088: DD348100 00085006
	s_mov_b64 exec, s[36:37]                                   // 00000000A090: BEFE0124
	v_mov_b32_e32 v6, v43                                      // 00000000A094: 7E0C032B
	s_mov_b64 s[60:61], 0                                      // 00000000A098: BEBC0180
	v_readlane_b32 s82, v3, 2                                  // 00000000A09C: D2890052 00010503
	s_and_b32 s82, s82, 0xffffff                               // 00000000A0A4: 8652FF52 00FFFFFF
	s_cmp_lt_u32 s82, s66                                      // 00000000A0AC: BF0A4252
	s_cselect_b32 s20, s36, s60                                // 00000000A0B0: 85143C24
	v_readlane_b32 s82, v3, 3                                  // 00000000A0B4: D2890052 00010703
	s_and_b32 s82, s82, 0xffffff                               // 00000000A0BC: 8652FF52 00FFFFFF
	s_cmp_lt_u32 s82, s66                                      // 00000000A0C4: BF0A4252
	s_cselect_b32 s21, s36, s60                                // 00000000A0C8: 85153C24
	s_mov_b64 exec, s[20:21]                                   // 00000000A0CC: BEFE0114
	global_atomic_add_f32 v6, v77, s[8:9]                      // 00000000A0D0: DD348000 00084D06
	global_atomic_add_f32 v6, v81, s[8:9] offset:256           // 00000000A0D8: DD348100 00085106
	s_mov_b64 exec, s[36:37]                                   // 00000000A0E0: BEFE0124
	v_mov_b32_e32 v6, v44                                      // 00000000A0E4: 7E0C032C
	s_mov_b64 s[60:61], 0                                      // 00000000A0E8: BEBC0180
	v_readlane_b32 s82, v3, 4                                  // 00000000A0EC: D2890052 00010903
	s_and_b32 s82, s82, 0xffffff                               // 00000000A0F4: 8652FF52 00FFFFFF
	s_cmp_lt_u32 s82, s66                                      // 00000000A0FC: BF0A4252
	s_cselect_b32 s20, s36, s60                                // 00000000A100: 85143C24
	v_readlane_b32 s82, v3, 5                                  // 00000000A104: D2890052 00010B03
	s_and_b32 s82, s82, 0xffffff                               // 00000000A10C: 8652FF52 00FFFFFF
	s_cmp_lt_u32 s82, s66                                      // 00000000A114: BF0A4252
	s_cselect_b32 s21, s36, s60                                // 00000000A118: 85153C24
	s_mov_b64 exec, s[20:21]                                   // 00000000A11C: BEFE0114
	global_atomic_add_f32 v6, v84, s[8:9]                      // 00000000A120: DD348000 00085406
	global_atomic_add_f32 v6, v88, s[8:9] offset:256           // 00000000A128: DD348100 00085806
	s_mov_b64 exec, s[36:37]                                   // 00000000A130: BEFE0124
	v_mov_b32_e32 v6, v45                                      // 00000000A134: 7E0C032D
	s_mov_b64 s[60:61], 0                                      // 00000000A138: BEBC0180
	v_readlane_b32 s82, v3, 6                                  // 00000000A13C: D2890052 00010D03
	s_and_b32 s82, s82, 0xffffff                               // 00000000A144: 8652FF52 00FFFFFF
	s_cmp_lt_u32 s82, s66                                      // 00000000A14C: BF0A4252
	s_cselect_b32 s20, s36, s60                                // 00000000A150: 85143C24
	v_readlane_b32 s82, v3, 7                                  // 00000000A154: D2890052 00010F03
	s_and_b32 s82, s82, 0xffffff                               // 00000000A15C: 8652FF52 00FFFFFF
	s_cmp_lt_u32 s82, s66                                      // 00000000A164: BF0A4252
	s_cselect_b32 s21, s36, s60                                // 00000000A168: 85153C24
	s_mov_b64 exec, s[20:21]                                   // 00000000A16C: BEFE0114
	global_atomic_add_f32 v6, v85, s[8:9]                      // 00000000A170: DD348000 00085506
	global_atomic_add_f32 v6, v89, s[8:9] offset:256           // 00000000A178: DD348100 00085906
	s_mov_b64 exec, s[36:37]                                   // 00000000A180: BEFE0124
	v_mov_b32_e32 v6, v46                                      // 00000000A184: 7E0C032E
	s_mov_b64 s[60:61], 0                                      // 00000000A188: BEBC0180
	v_readlane_b32 s82, v3, 8                                  // 00000000A18C: D2890052 00011103
	s_and_b32 s82, s82, 0xffffff                               // 00000000A194: 8652FF52 00FFFFFF
	s_cmp_lt_u32 s82, s66                                      // 00000000A19C: BF0A4252
	s_cselect_b32 s20, s36, s60                                // 00000000A1A0: 85143C24
	v_readlane_b32 s82, v3, 9                                  // 00000000A1A4: D2890052 00011303
	s_and_b32 s82, s82, 0xffffff                               // 00000000A1AC: 8652FF52 00FFFFFF
	s_cmp_lt_u32 s82, s66                                      // 00000000A1B4: BF0A4252
	s_cselect_b32 s21, s36, s60                                // 00000000A1B8: 85153C24
	s_mov_b64 exec, s[20:21]                                   // 00000000A1BC: BEFE0114
	global_atomic_add_f32 v6, v92, s[8:9]                      // 00000000A1C0: DD348000 00085C06
	global_atomic_add_f32 v6, v96, s[8:9] offset:256           // 00000000A1C8: DD348100 00086006
	s_mov_b64 exec, s[36:37]                                   // 00000000A1D0: BEFE0124
	v_mov_b32_e32 v6, v47                                      // 00000000A1D4: 7E0C032F
	s_mov_b64 s[60:61], 0                                      // 00000000A1D8: BEBC0180
	v_readlane_b32 s82, v3, 10                                 // 00000000A1DC: D2890052 00011503
	s_and_b32 s82, s82, 0xffffff                               // 00000000A1E4: 8652FF52 00FFFFFF
	s_cmp_lt_u32 s82, s66                                      // 00000000A1EC: BF0A4252
	s_cselect_b32 s20, s36, s60                                // 00000000A1F0: 85143C24
	v_readlane_b32 s82, v3, 11                                 // 00000000A1F4: D2890052 00011703
	s_and_b32 s82, s82, 0xffffff                               // 00000000A1FC: 8652FF52 00FFFFFF
	s_cmp_lt_u32 s82, s66                                      // 00000000A204: BF0A4252
	s_cselect_b32 s21, s36, s60                                // 00000000A208: 85153C24
	s_mov_b64 exec, s[20:21]                                   // 00000000A20C: BEFE0114
	global_atomic_add_f32 v6, v93, s[8:9]                      // 00000000A210: DD348000 00085D06
	global_atomic_add_f32 v6, v97, s[8:9] offset:256           // 00000000A218: DD348100 00086106
	s_mov_b64 exec, s[36:37]                                   // 00000000A220: BEFE0124
	ds_write_b64 v20, v[78:79]                                 // 00000000A224: D89A0000 00004E14
	ds_write_b64 v20, v[82:83] offset:4352                     // 00000000A22C: D89A1100 00005214
	ds_write_b64 v20, v[86:87] offset:8704                     // 00000000A234: D89A2200 00005614
	ds_write_b64 v20, v[90:91] offset:2176                     // 00000000A23C: D89A0880 00005A14
	ds_write_b64 v20, v[94:95] offset:6528                     // 00000000A244: D89A1980 00005E14
	ds_write_b64 v20, v[98:99] offset:10880                    // 00000000A24C: D89A2A80 00006214
	s_waitcnt lgkmcnt(0)                                       // 00000000A254: BF8CC07F
	s_barrier                                                  // 00000000A258: BF8A0000
	ds_read_b32 v78, v21                                       // 00000000A25C: D86C0000 4E000015
	ds_read_b32 v79, v21 offset:64                             // 00000000A264: D86C0040 4F000015
	ds_read_b32 v82, v21 offset:2176                           // 00000000A26C: D86C0880 52000015
	ds_read_b32 v83, v21 offset:2240                           // 00000000A274: D86C08C0 53000015
	ds_read_b32 v86, v21 offset:4352                           // 00000000A27C: D86C1100 56000015
	ds_read_b32 v87, v21 offset:4416                           // 00000000A284: D86C1140 57000015
	ds_read_b32 v90, v21 offset:6528                           // 00000000A28C: D86C1980 5A000015
	ds_read_b32 v91, v21 offset:6592                           // 00000000A294: D86C19C0 5B000015
	ds_read_b32 v94, v21 offset:8704                           // 00000000A29C: D86C2200 5E000015
	ds_read_b32 v95, v21 offset:8768                           // 00000000A2A4: D86C2240 5F000015
	ds_read_b32 v98, v21 offset:10880                          // 00000000A2AC: D86C2A80 62000015
	ds_read_b32 v99, v21 offset:10944                          // 00000000A2B4: D86C2AC0 63000015
	s_waitcnt lgkmcnt(0)                                       // 00000000A2BC: BF8CC07F
	v_mov_b32_e32 v7, 0                                        // 00000000A2C0: 7E0E0280
	s_mov_b64 exec, s[36:37]                                   // 00000000A2C4: BEFE0124
	v_mov_b32_e32 v6, v42                                      // 00000000A2C8: 7E0C032A
	s_mov_b64 s[60:61], 0                                      // 00000000A2CC: BEBC0180
	v_readlane_b32 s82, v3, 0                                  // 00000000A2D0: D2890052 00010103
	s_and_b32 s82, s82, 0xffffff                               // 00000000A2D8: 8652FF52 00FFFFFF
	s_cmp_lt_u32 s82, s66                                      // 00000000A2E0: BF0A4252
	s_cselect_b32 s20, s36, s60                                // 00000000A2E4: 85143C24
	v_readlane_b32 s82, v3, 1                                  // 00000000A2E8: D2890052 00010303
	s_and_b32 s82, s82, 0xffffff                               // 00000000A2F0: 8652FF52 00FFFFFF
	s_cmp_lt_u32 s82, s66                                      // 00000000A2F8: BF0A4252
	s_cselect_b32 s21, s36, s60                                // 00000000A2FC: 85153C24
	s_mov_b64 exec, s[20:21]                                   // 00000000A300: BEFE0114
	global_atomic_add_f32 v6, v78, s[8:9] offset:8             // 00000000A304: DD348008 00084E06
	global_atomic_add_f32 v6, v82, s[8:9] offset:264           // 00000000A30C: DD348108 00085206
	s_mov_b64 exec, s[36:37]                                   // 00000000A314: BEFE0124
	v_mov_b32_e32 v6, v43                                      // 00000000A318: 7E0C032B
	s_mov_b64 s[60:61], 0                                      // 00000000A31C: BEBC0180
	v_readlane_b32 s82, v3, 2                                  // 00000000A320: D2890052 00010503
	s_and_b32 s82, s82, 0xffffff                               // 00000000A328: 8652FF52 00FFFFFF
	s_cmp_lt_u32 s82, s66                                      // 00000000A330: BF0A4252
	s_cselect_b32 s20, s36, s60                                // 00000000A334: 85143C24
	v_readlane_b32 s82, v3, 3                                  // 00000000A338: D2890052 00010703
	s_and_b32 s82, s82, 0xffffff                               // 00000000A340: 8652FF52 00FFFFFF
	s_cmp_lt_u32 s82, s66                                      // 00000000A348: BF0A4252
	s_cselect_b32 s21, s36, s60                                // 00000000A34C: 85153C24
	s_mov_b64 exec, s[20:21]                                   // 00000000A350: BEFE0114
	global_atomic_add_f32 v6, v79, s[8:9] offset:8             // 00000000A354: DD348008 00084F06
	global_atomic_add_f32 v6, v83, s[8:9] offset:264           // 00000000A35C: DD348108 00085306
	s_mov_b64 exec, s[36:37]                                   // 00000000A364: BEFE0124
	v_mov_b32_e32 v6, v44                                      // 00000000A368: 7E0C032C
	s_mov_b64 s[60:61], 0                                      // 00000000A36C: BEBC0180
	v_readlane_b32 s82, v3, 4                                  // 00000000A370: D2890052 00010903
	s_and_b32 s82, s82, 0xffffff                               // 00000000A378: 8652FF52 00FFFFFF
	s_cmp_lt_u32 s82, s66                                      // 00000000A380: BF0A4252
	s_cselect_b32 s20, s36, s60                                // 00000000A384: 85143C24
	v_readlane_b32 s82, v3, 5                                  // 00000000A388: D2890052 00010B03
	s_and_b32 s82, s82, 0xffffff                               // 00000000A390: 8652FF52 00FFFFFF
	s_cmp_lt_u32 s82, s66                                      // 00000000A398: BF0A4252
	s_cselect_b32 s21, s36, s60                                // 00000000A39C: 85153C24
	s_mov_b64 exec, s[20:21]                                   // 00000000A3A0: BEFE0114
	global_atomic_add_f32 v6, v86, s[8:9] offset:8             // 00000000A3A4: DD348008 00085606
	global_atomic_add_f32 v6, v90, s[8:9] offset:264           // 00000000A3AC: DD348108 00085A06
	s_mov_b64 exec, s[36:37]                                   // 00000000A3B4: BEFE0124
	v_mov_b32_e32 v6, v45                                      // 00000000A3B8: 7E0C032D
	s_mov_b64 s[60:61], 0                                      // 00000000A3BC: BEBC0180
	v_readlane_b32 s82, v3, 6                                  // 00000000A3C0: D2890052 00010D03
	s_and_b32 s82, s82, 0xffffff                               // 00000000A3C8: 8652FF52 00FFFFFF
	s_cmp_lt_u32 s82, s66                                      // 00000000A3D0: BF0A4252
	s_cselect_b32 s20, s36, s60                                // 00000000A3D4: 85143C24
	v_readlane_b32 s82, v3, 7                                  // 00000000A3D8: D2890052 00010F03
	s_and_b32 s82, s82, 0xffffff                               // 00000000A3E0: 8652FF52 00FFFFFF
	s_cmp_lt_u32 s82, s66                                      // 00000000A3E8: BF0A4252
	s_cselect_b32 s21, s36, s60                                // 00000000A3EC: 85153C24
	s_mov_b64 exec, s[20:21]                                   // 00000000A3F0: BEFE0114
	global_atomic_add_f32 v6, v87, s[8:9] offset:8             // 00000000A3F4: DD348008 00085706
	global_atomic_add_f32 v6, v91, s[8:9] offset:264           // 00000000A3FC: DD348108 00085B06
	s_mov_b64 exec, s[36:37]                                   // 00000000A404: BEFE0124
	v_mov_b32_e32 v6, v46                                      // 00000000A408: 7E0C032E
	s_mov_b64 s[60:61], 0                                      // 00000000A40C: BEBC0180
	v_readlane_b32 s82, v3, 8                                  // 00000000A410: D2890052 00011103
	s_and_b32 s82, s82, 0xffffff                               // 00000000A418: 8652FF52 00FFFFFF
	s_cmp_lt_u32 s82, s66                                      // 00000000A420: BF0A4252
	s_cselect_b32 s20, s36, s60                                // 00000000A424: 85143C24
	v_readlane_b32 s82, v3, 9                                  // 00000000A428: D2890052 00011303
	s_and_b32 s82, s82, 0xffffff                               // 00000000A430: 8652FF52 00FFFFFF
	s_cmp_lt_u32 s82, s66                                      // 00000000A438: BF0A4252
	s_cselect_b32 s21, s36, s60                                // 00000000A43C: 85153C24
	s_mov_b64 exec, s[20:21]                                   // 00000000A440: BEFE0114
	global_atomic_add_f32 v6, v94, s[8:9] offset:8             // 00000000A444: DD348008 00085E06
	global_atomic_add_f32 v6, v98, s[8:9] offset:264           // 00000000A44C: DD348108 00086206
	s_mov_b64 exec, s[36:37]                                   // 00000000A454: BEFE0124
	v_mov_b32_e32 v6, v47                                      // 00000000A458: 7E0C032F
	s_mov_b64 s[60:61], 0                                      // 00000000A45C: BEBC0180
	v_readlane_b32 s82, v3, 10                                 // 00000000A460: D2890052 00011503
	s_and_b32 s82, s82, 0xffffff                               // 00000000A468: 8652FF52 00FFFFFF
	s_cmp_lt_u32 s82, s66                                      // 00000000A470: BF0A4252
	s_cselect_b32 s20, s36, s60                                // 00000000A474: 85143C24
	v_readlane_b32 s82, v3, 11                                 // 00000000A478: D2890052 00011703
	s_and_b32 s82, s82, 0xffffff                               // 00000000A480: 8652FF52 00FFFFFF
	s_cmp_lt_u32 s82, s66                                      // 00000000A488: BF0A4252
	s_cselect_b32 s21, s36, s60                                // 00000000A48C: 85153C24
	s_mov_b64 exec, s[20:21]                                   // 00000000A490: BEFE0114
	global_atomic_add_f32 v6, v95, s[8:9] offset:8             // 00000000A494: DD348008 00085F06
	global_atomic_add_f32 v6, v99, s[8:9] offset:264           // 00000000A49C: DD348108 00086306
	s_mov_b64 exec, s[36:37]                                   // 00000000A4A4: BEFE0124
	s_branch label_1EAE                                        // 00000000A4A8: BF820000

000000000000a4ac <label_1EAE>:
	s_waitcnt vmcnt(0) expcnt(0) lgkmcnt(0)                    // 00000000A4AC: BF8C0000
	s_endpgm                                                   // 00000000A4B0: BF810000
